;; amdgpu-corpus repo=ROCm/rocFFT kind=compiled arch=gfx906 opt=O3
	.text
	.amdgcn_target "amdgcn-amd-amdhsa--gfx906"
	.amdhsa_code_object_version 6
	.protected	bluestein_single_back_len1008_dim1_half_op_CI_CI ; -- Begin function bluestein_single_back_len1008_dim1_half_op_CI_CI
	.globl	bluestein_single_back_len1008_dim1_half_op_CI_CI
	.p2align	8
	.type	bluestein_single_back_len1008_dim1_half_op_CI_CI,@function
bluestein_single_back_len1008_dim1_half_op_CI_CI: ; @bluestein_single_back_len1008_dim1_half_op_CI_CI
; %bb.0:
	s_load_dwordx4 s[16:19], s[4:5], 0x28
	v_mul_u32_u24_e32 v1, 0x493, v0
	v_add_u32_sdwa v12, s6, v1 dst_sel:DWORD dst_unused:UNUSED_PAD src0_sel:DWORD src1_sel:WORD_1
	v_mov_b32_e32 v13, 0
	s_waitcnt lgkmcnt(0)
	v_cmp_gt_u64_e32 vcc, s[16:17], v[12:13]
	s_and_saveexec_b64 s[0:1], vcc
	s_cbranch_execz .LBB0_10
; %bb.1:
	s_load_dwordx4 s[8:11], s[4:5], 0x18
	s_load_dwordx4 s[12:15], s[4:5], 0x0
	v_mov_b32_e32 v2, 56
	v_mul_lo_u16_sdwa v1, v1, v2 dst_sel:DWORD dst_unused:UNUSED_PAD src0_sel:WORD_1 src1_sel:DWORD
	v_sub_u16_e32 v75, v0, v1
	s_waitcnt lgkmcnt(0)
	s_load_dwordx4 s[0:3], s[8:9], 0x0
	v_lshlrev_b32_e32 v62, 2, v75
	global_load_dword v76, v62, s[12:13]
	v_or_b32_e32 v58, 0x380, v75
	v_or_b32_e32 v57, 0x1c0, v75
	s_waitcnt lgkmcnt(0)
	v_mad_u64_u32 v[0:1], s[6:7], s2, v12, 0
	v_mad_u64_u32 v[2:3], s[6:7], s0, v75, 0
	s_mul_i32 s6, s0, 0x7e0
	s_mul_hi_u32 s7, s0, 0xfffff900
	v_mad_u64_u32 v[4:5], s[2:3], s3, v12, v[1:2]
	s_sub_i32 s16, s7, s0
	s_mul_i32 s7, s0, 0xfffff900
	v_mad_u64_u32 v[5:6], s[2:3], s1, v75, v[3:4]
	v_mov_b32_e32 v1, v4
	v_lshlrev_b64 v[0:1], 2, v[0:1]
	v_mov_b32_e32 v6, s19
	v_mov_b32_e32 v3, v5
	v_add_co_u32_e32 v10, vcc, s18, v0
	v_addc_co_u32_e32 v11, vcc, v6, v1, vcc
	v_lshlrev_b64 v[0:1], 2, v[2:3]
	s_mul_i32 s2, s1, 0x7e0
	v_add_co_u32_e32 v0, vcc, v10, v0
	s_mul_hi_u32 s3, s0, 0x7e0
	v_addc_co_u32_e32 v1, vcc, v11, v1, vcc
	s_add_i32 s3, s3, s2
	v_mov_b32_e32 v3, s3
	v_add_co_u32_e32 v2, vcc, s6, v0
	s_mul_i32 s2, s1, 0xfffff900
	v_addc_co_u32_e32 v3, vcc, v1, v3, vcc
	s_add_i32 s16, s16, s2
	global_load_dword v5, v[0:1], off
	global_load_dword v6, v[2:3], off
	global_load_dword v74, v62, s[12:13] offset:2016
	v_mov_b32_e32 v1, s16
	v_add_co_u32_e32 v0, vcc, s7, v2
	v_addc_co_u32_e32 v1, vcc, v3, v1, vcc
	global_load_dword v7, v[0:1], off
	global_load_dword v73, v62, s[12:13] offset:224
	v_mov_b32_e32 v2, s3
	v_add_co_u32_e32 v0, vcc, s6, v0
	v_addc_co_u32_e32 v1, vcc, v1, v2, vcc
	;; [unrolled: 5-line block ×4, first 2 shown]
	global_load_dword v1, v[3:4], off
	global_load_dword v69, v62, s[12:13] offset:2464
	s_load_dwordx4 s[8:11], s[10:11], 0x0
	global_load_dword v68, v62, s[12:13] offset:2688
	global_load_dword v66, v62, s[12:13] offset:2912
	;; [unrolled: 1-line block ×10, first 2 shown]
	s_movk_i32 s2, 0x70
	v_add_co_u32_e32 v2, vcc, 56, v75
	s_movk_i32 s18, 0xa8
	v_lshlrev_b32_e32 v77, 3, v75
	v_lshlrev_b32_e32 v78, 3, v2
	v_lshlrev_b32_e32 v82, 3, v57
	v_and_b32_e32 v33, 3, v75
	v_lshrrev_b32_e32 v37, 4, v75
	v_mul_u32_u24_e32 v37, 48, v37
                                        ; implicit-def: $vgpr144
                                        ; implicit-def: $vgpr143
                                        ; implicit-def: $vgpr145
                                        ; implicit-def: $vgpr146
	s_waitcnt vmcnt(20)
	v_lshrrev_b32_e32 v0, 16, v5
	v_mul_f16_sdwa v13, v76, v5 dst_sel:DWORD dst_unused:UNUSED_PAD src0_sel:WORD_1 src1_sel:DWORD
	v_mul_f16_sdwa v14, v76, v0 dst_sel:DWORD dst_unused:UNUSED_PAD src0_sel:WORD_1 src1_sel:DWORD
	v_fma_f16 v0, v76, v0, -v13
	s_waitcnt vmcnt(19)
	v_lshrrev_b32_e32 v13, 16, v6
	s_waitcnt vmcnt(18)
	v_mul_f16_sdwa v15, v74, v6 dst_sel:DWORD dst_unused:UNUSED_PAD src0_sel:WORD_1 src1_sel:DWORD
	v_fma_f16 v5, v76, v5, v14
	v_mul_f16_sdwa v14, v74, v13 dst_sel:DWORD dst_unused:UNUSED_PAD src0_sel:WORD_1 src1_sel:DWORD
	v_fma_f16 v13, v74, v13, -v15
	s_waitcnt vmcnt(17)
	v_lshrrev_b32_e32 v15, 16, v7
	s_waitcnt vmcnt(16)
	v_mul_f16_sdwa v16, v73, v7 dst_sel:DWORD dst_unused:UNUSED_PAD src0_sel:WORD_1 src1_sel:DWORD
	v_pack_b32_f16 v0, v5, v0
	v_fma_f16 v5, v74, v6, v14
	v_mul_f16_sdwa v6, v73, v15 dst_sel:DWORD dst_unused:UNUSED_PAD src0_sel:WORD_1 src1_sel:DWORD
	v_fma_f16 v14, v73, v15, -v16
	v_pack_b32_f16 v5, v5, v13
	v_fma_f16 v6, v73, v7, v6
	s_waitcnt vmcnt(15)
	v_lshrrev_b32_e32 v15, 16, v8
	ds_write_b32 v62, v5 offset:2016
	v_pack_b32_f16 v5, v6, v14
	s_waitcnt vmcnt(14)
	v_mul_f16_sdwa v7, v72, v15 dst_sel:DWORD dst_unused:UNUSED_PAD src0_sel:WORD_1 src1_sel:DWORD
	ds_write2_b32 v62, v0, v5 offset1:56
	v_mul_f16_sdwa v0, v72, v8 dst_sel:DWORD dst_unused:UNUSED_PAD src0_sel:WORD_1 src1_sel:DWORD
	v_fma_f16 v6, v72, v8, v7
	v_fma_f16 v0, v72, v15, -v0
	v_pack_b32_f16 v5, v6, v0
	s_waitcnt vmcnt(13)
	v_lshrrev_b32_e32 v6, 16, v9
	s_waitcnt vmcnt(12)
	v_mul_f16_sdwa v7, v71, v6 dst_sel:DWORD dst_unused:UNUSED_PAD src0_sel:WORD_1 src1_sel:DWORD
	v_mul_f16_sdwa v8, v71, v9 dst_sel:DWORD dst_unused:UNUSED_PAD src0_sel:WORD_1 src1_sel:DWORD
	v_fma_f16 v7, v71, v9, v7
	v_fma_f16 v6, v71, v6, -v8
	v_pack_b32_f16 v13, v7, v6
	s_waitcnt vmcnt(11)
	v_lshrrev_b32_e32 v6, 16, v1
	s_waitcnt vmcnt(10)
	v_mul_f16_sdwa v7, v69, v6 dst_sel:DWORD dst_unused:UNUSED_PAD src0_sel:WORD_1 src1_sel:DWORD
	v_fma_f16 v7, v69, v1, v7
	v_mul_f16_sdwa v1, v69, v1 dst_sel:DWORD dst_unused:UNUSED_PAD src0_sel:WORD_1 src1_sel:DWORD
	v_fma_f16 v1, v69, v6, -v1
	v_add_co_u32_e32 v0, vcc, s2, v75
	v_pack_b32_f16 v6, v7, v1
	v_add_u32_e32 v1, 0x800, v62
	ds_write2_b32 v1, v5, v6 offset0:48 offset1:104
	v_mov_b32_e32 v5, s16
	v_add_co_u32_e32 v3, vcc, s7, v3
	v_addc_co_u32_e32 v4, vcc, v4, v5, vcc
	global_load_dword v14, v[3:4], off
	v_mov_b32_e32 v5, s3
	v_add_co_u32_e32 v3, vcc, s6, v3
	v_addc_co_u32_e32 v4, vcc, v4, v5, vcc
	global_load_dword v15, v[3:4], off
	;; [unrolled: 4-line block ×7, first 2 shown]
	v_mov_b32_e32 v5, s3
	v_add_co_u32_e32 v3, vcc, s6, v3
	v_addc_co_u32_e32 v4, vcc, v4, v5, vcc
	v_mov_b32_e32 v7, s16
	v_mad_u64_u32 v[5:6], s[16:17], s0, v58, 0
	global_load_dword v21, v[3:4], off
	v_add_co_u32_e32 v3, vcc, s7, v3
	v_addc_co_u32_e32 v4, vcc, v4, v7, vcc
	v_mad_u64_u32 v[6:7], s[6:7], s1, v58, v[6:7]
	v_mad_u64_u32 v[7:8], s[6:7], s0, v57, 0
	v_lshlrev_b64 v[5:6], 2, v[5:6]
	global_load_dword v22, v[3:4], off
	v_mad_u64_u32 v[8:9], s[6:7], s1, v57, v[8:9]
	v_add_co_u32_e32 v5, vcc, v10, v5
	v_addc_co_u32_e32 v6, vcc, v11, v6, vcc
	global_load_dword v9, v[5:6], off
	global_load_dword v60, v62, s[12:13] offset:3584
	v_lshlrev_b64 v[5:6], 2, v[7:8]
	v_lshlrev_b32_e32 v79, 3, v0
	v_add_co_u32_e32 v5, vcc, v10, v5
	v_addc_co_u32_e32 v6, vcc, v11, v6, vcc
	global_load_dword v8, v[5:6], off
	v_mov_b32_e32 v5, 0x8c0
	v_mad_u64_u32 v[3:4], s[6:7], s0, v5, v[3:4]
	s_mul_i32 s0, s1, 0x8c0
	v_add_co_u32_e32 v5, vcc, s18, v75
	v_add_u32_e32 v4, s0, v4
	global_load_dword v10, v[3:4], off
	global_load_dword v55, v62, s[12:13] offset:3808
	s_movk_i32 s0, 0xe0
	v_lshlrev_b32_e32 v80, 3, v5
	s_waitcnt vmcnt(13)
	v_lshrrev_b32_e32 v6, 16, v14
	v_mul_f16_sdwa v3, v70, v6 dst_sel:DWORD dst_unused:UNUSED_PAD src0_sel:WORD_1 src1_sel:DWORD
	v_mul_f16_sdwa v4, v70, v14 dst_sel:DWORD dst_unused:UNUSED_PAD src0_sel:WORD_1 src1_sel:DWORD
	v_fma_f16 v3, v70, v14, v3
	v_fma_f16 v4, v70, v6, -v4
	v_pack_b32_f16 v3, v3, v4
	ds_write2_b32 v62, v13, v3 offset0:112 offset1:168
	s_waitcnt vmcnt(12)
	v_lshrrev_b32_e32 v3, 16, v15
	v_mul_f16_sdwa v4, v68, v3 dst_sel:DWORD dst_unused:UNUSED_PAD src0_sel:WORD_1 src1_sel:DWORD
	v_mul_f16_sdwa v6, v68, v15 dst_sel:DWORD dst_unused:UNUSED_PAD src0_sel:WORD_1 src1_sel:DWORD
	v_fma_f16 v4, v68, v15, v4
	v_fma_f16 v3, v68, v3, -v6
	v_pack_b32_f16 v3, v4, v3
	s_waitcnt vmcnt(11)
	v_lshrrev_b32_e32 v4, 16, v16
	v_mul_f16_sdwa v7, v67, v4 dst_sel:DWORD dst_unused:UNUSED_PAD src0_sel:WORD_1 src1_sel:DWORD
	v_mul_f16_sdwa v11, v67, v16 dst_sel:DWORD dst_unused:UNUSED_PAD src0_sel:WORD_1 src1_sel:DWORD
	v_fma_f16 v7, v67, v16, v7
	v_fma_f16 v4, v67, v4, -v11
	v_pack_b32_f16 v4, v7, v4
	s_waitcnt vmcnt(10)
	v_lshrrev_b32_e32 v7, 16, v17
	v_mul_f16_sdwa v11, v66, v7 dst_sel:DWORD dst_unused:UNUSED_PAD src0_sel:WORD_1 src1_sel:DWORD
	v_mul_f16_sdwa v13, v66, v17 dst_sel:DWORD dst_unused:UNUSED_PAD src0_sel:WORD_1 src1_sel:DWORD
	v_fma_f16 v11, v66, v17, v11
	v_fma_f16 v7, v66, v7, -v13
	v_pack_b32_f16 v7, v11, v7
	ds_write2_b32 v1, v3, v7 offset0:160 offset1:216
	s_waitcnt vmcnt(9)
	v_lshrrev_b32_e32 v3, 16, v18
	v_mul_f16_sdwa v7, v65, v3 dst_sel:DWORD dst_unused:UNUSED_PAD src0_sel:WORD_1 src1_sel:DWORD
	v_mul_f16_sdwa v11, v65, v18 dst_sel:DWORD dst_unused:UNUSED_PAD src0_sel:WORD_1 src1_sel:DWORD
	v_fma_f16 v7, v65, v18, v7
	v_fma_f16 v3, v65, v3, -v11
	v_pack_b32_f16 v3, v7, v3
	v_add_u32_e32 v7, 0x200, v62
	ds_write2_b32 v7, v4, v3 offset0:96 offset1:152
	s_waitcnt vmcnt(8)
	v_lshrrev_b32_e32 v3, 16, v19
	v_mul_f16_sdwa v4, v64, v3 dst_sel:DWORD dst_unused:UNUSED_PAD src0_sel:WORD_1 src1_sel:DWORD
	v_mul_f16_sdwa v11, v64, v19 dst_sel:DWORD dst_unused:UNUSED_PAD src0_sel:WORD_1 src1_sel:DWORD
	v_fma_f16 v4, v64, v19, v4
	v_fma_f16 v3, v64, v3, -v11
	v_pack_b32_f16 v4, v4, v3
	s_waitcnt vmcnt(7)
	v_lshrrev_b32_e32 v3, 16, v20
	v_mul_f16_sdwa v11, v63, v3 dst_sel:DWORD dst_unused:UNUSED_PAD src0_sel:WORD_1 src1_sel:DWORD
	v_mul_f16_sdwa v13, v63, v20 dst_sel:DWORD dst_unused:UNUSED_PAD src0_sel:WORD_1 src1_sel:DWORD
	v_fma_f16 v11, v63, v20, v11
	v_fma_f16 v3, v63, v3, -v13
	v_pack_b32_f16 v11, v11, v3
	;; [unrolled: 7-line block ×3, first 2 shown]
	v_add_u32_e32 v3, 0xc00, v62
	ds_write2_b32 v3, v4, v13 offset0:16 offset1:72
	v_add_co_u32_e32 v6, vcc, s0, v75
	s_waitcnt vmcnt(5)
	v_lshrrev_b32_e32 v4, 16, v22
	v_mul_f16_sdwa v13, v59, v4 dst_sel:DWORD dst_unused:UNUSED_PAD src0_sel:WORD_1 src1_sel:DWORD
	v_mul_f16_sdwa v14, v59, v22 dst_sel:DWORD dst_unused:UNUSED_PAD src0_sel:WORD_1 src1_sel:DWORD
	v_fma_f16 v13, v59, v22, v13
	v_fma_f16 v4, v59, v4, -v14
	v_pack_b32_f16 v13, v13, v4
	v_add_u32_e32 v4, 0x400, v62
	ds_write2_b32 v4, v11, v13 offset0:80 offset1:136
	s_waitcnt vmcnt(4)
	v_lshrrev_b32_e32 v11, 16, v9
	s_waitcnt vmcnt(3)
	v_mul_f16_sdwa v13, v60, v11 dst_sel:DWORD dst_unused:UNUSED_PAD src0_sel:WORD_1 src1_sel:DWORD
	v_fma_f16 v13, v60, v9, v13
	v_mul_f16_sdwa v9, v60, v9 dst_sel:DWORD dst_unused:UNUSED_PAD src0_sel:WORD_1 src1_sel:DWORD
	v_fma_f16 v9, v60, v11, -v9
	s_waitcnt vmcnt(2)
	v_lshrrev_b32_e32 v11, 16, v8
	v_pack_b32_f16 v9, v13, v9
	v_mul_f16_sdwa v13, v56, v11 dst_sel:DWORD dst_unused:UNUSED_PAD src0_sel:WORD_1 src1_sel:DWORD
	v_fma_f16 v13, v56, v8, v13
	v_mul_f16_sdwa v8, v56, v8 dst_sel:DWORD dst_unused:UNUSED_PAD src0_sel:WORD_1 src1_sel:DWORD
	v_fma_f16 v8, v56, v11, -v8
	v_pack_b32_f16 v8, v13, v8
	ds_write_b32 v62, v8 offset:1792
	s_waitcnt vmcnt(1)
	v_lshrrev_b32_e32 v8, 16, v10
	s_waitcnt vmcnt(0)
	v_mul_f16_sdwa v11, v55, v8 dst_sel:DWORD dst_unused:UNUSED_PAD src0_sel:WORD_1 src1_sel:DWORD
	v_fma_f16 v11, v55, v10, v11
	v_mul_f16_sdwa v10, v55, v10 dst_sel:DWORD dst_unused:UNUSED_PAD src0_sel:WORD_1 src1_sel:DWORD
	v_fma_f16 v8, v55, v8, -v10
	v_pack_b32_f16 v8, v11, v8
	ds_write2_b32 v3, v9, v8 offset0:128 offset1:184
	s_waitcnt lgkmcnt(0)
	; wave barrier
	s_waitcnt lgkmcnt(0)
	ds_read2_b32 v[10:11], v62 offset1:56
	ds_read2_b32 v[13:14], v4 offset0:192 offset1:248
	ds_read2_b32 v[15:16], v1 offset0:48 offset1:104
	;; [unrolled: 1-line block ×5, first 2 shown]
	s_waitcnt lgkmcnt(4)
	v_pk_add_f16 v18, v10, v14 neg_lo:[0,1] neg_hi:[0,1]
	s_waitcnt lgkmcnt(3)
	v_pk_add_f16 v15, v11, v15 neg_lo:[0,1] neg_hi:[0,1]
	v_pk_fma_f16 v17, v10, 2.0, v18 op_sel_hi:[1,0,1] neg_lo:[0,0,1] neg_hi:[0,0,1]
	v_pk_fma_f16 v14, v11, 2.0, v15 op_sel_hi:[1,0,1] neg_lo:[0,0,1] neg_hi:[0,0,1]
	ds_read2_b32 v[10:11], v1 offset0:160 offset1:216
	s_waitcnt lgkmcnt(3)
	v_pk_add_f16 v22, v19, v16 neg_lo:[0,1] neg_hi:[0,1]
	v_pk_fma_f16 v21, v19, 2.0, v22 op_sel_hi:[1,0,1] neg_lo:[0,0,1] neg_hi:[0,0,1]
	ds_read2_b32 v[29:30], v3 offset0:128 offset1:184
	s_movk_i32 s0, 0x118
	s_waitcnt lgkmcnt(1)
	v_pk_add_f16 v26, v20, v10 neg_lo:[0,1] neg_hi:[0,1]
	v_pk_fma_f16 v25, v20, 2.0, v26 op_sel_hi:[1,0,1] neg_lo:[0,0,1] neg_hi:[0,0,1]
	ds_read2_b32 v[19:20], v3 offset0:16 offset1:72
	v_pk_add_f16 v11, v23, v11 neg_lo:[0,1] neg_hi:[0,1]
	v_lshlrev_b32_e32 v9, 1, v75
	v_pk_fma_f16 v10, v23, 2.0, v11 op_sel_hi:[1,0,1] neg_lo:[0,0,1] neg_hi:[0,0,1]
	v_add_co_u32_e32 v8, vcc, s0, v75
	s_waitcnt lgkmcnt(0)
	v_pk_add_f16 v32, v24, v19 neg_lo:[0,1] neg_hi:[0,1]
	v_pk_fma_f16 v31, v24, 2.0, v32 op_sel_hi:[1,0,1] neg_lo:[0,0,1] neg_hi:[0,0,1]
	v_pk_add_f16 v24, v28, v29 neg_lo:[0,1] neg_hi:[0,1]
	v_pk_add_f16 v20, v27, v20 neg_lo:[0,1] neg_hi:[0,1]
	v_pk_fma_f16 v23, v28, 2.0, v24 op_sel_hi:[1,0,1] neg_lo:[0,0,1] neg_hi:[0,0,1]
	v_pk_add_f16 v28, v13, v30 neg_lo:[0,1] neg_hi:[0,1]
	v_pk_fma_f16 v19, v27, 2.0, v20 op_sel_hi:[1,0,1] neg_lo:[0,0,1] neg_hi:[0,0,1]
	v_pk_fma_f16 v27, v13, 2.0, v28 op_sel_hi:[1,0,1] neg_lo:[0,0,1] neg_hi:[0,0,1]
	v_lshlrev_b32_e32 v13, 2, v9
	v_lshlrev_b32_e32 v84, 3, v6
	;; [unrolled: 1-line block ×3, first 2 shown]
	s_waitcnt lgkmcnt(0)
	; wave barrier
	ds_write_b64 v77, v[17:18]
	ds_write_b64 v78, v[14:15]
	;; [unrolled: 1-line block ×6, first 2 shown]
	v_add_u32_e32 v10, 0x800, v13
	v_and_b32_e32 v30, 1, v75
	ds_write2_b64 v10, v[19:20], v[23:24] offset0:80 offset1:136
	ds_write_b64 v82, v[27:28]
	v_lshlrev_b32_e32 v10, 2, v30
	s_waitcnt lgkmcnt(0)
	; wave barrier
	s_waitcnt lgkmcnt(0)
	global_load_dword v81, v10, s[14:15]
	ds_read2_b32 v[10:11], v62 offset1:56
	ds_read2_b32 v[16:17], v4 offset0:192 offset1:248
	s_movk_i32 s0, 0x7c
	ds_read2_b32 v[13:14], v1 offset0:48 offset1:104
	ds_read2_b32 v[18:19], v62 offset0:112 offset1:168
	ds_read2_b32 v[20:21], v1 offset0:160 offset1:216
	ds_read2_b32 v[22:23], v7 offset0:96 offset1:152
	s_movk_i32 s1, 0x2fc
	s_waitcnt lgkmcnt(5)
	v_lshrrev_b32_e32 v15, 16, v10
	s_waitcnt lgkmcnt(4)
	v_lshrrev_b32_e32 v24, 16, v17
	v_add_u32_e32 v134, 0x2a0, v9
	v_add_u32_e32 v135, 0x310, v9
	s_movk_i32 s3, 0xffd0
	s_waitcnt vmcnt(0)
	v_mul_f16_sdwa v25, v24, v81 dst_sel:DWORD dst_unused:UNUSED_PAD src0_sel:DWORD src1_sel:WORD_1
	v_fma_f16 v25, v17, v81, -v25
	v_mul_f16_sdwa v17, v17, v81 dst_sel:DWORD dst_unused:UNUSED_PAD src0_sel:DWORD src1_sel:WORD_1
	v_fma_f16 v17, v24, v81, v17
	v_sub_f16_e32 v26, v10, v25
	v_sub_f16_e32 v17, v15, v17
	v_fma_f16 v10, v10, 2.0, -v26
	v_fma_f16 v15, v15, 2.0, -v17
	v_pack_b32_f16 v10, v10, v15
	v_pack_b32_f16 v15, v26, v17
	v_and_or_b32 v17, v9, s0, v30
	v_lshlrev_b32_e32 v85, 2, v17
	ds_read2_b32 v[24:25], v3 offset0:16 offset1:72
	ds_read2_b32 v[26:27], v4 offset0:80 offset1:136
	;; [unrolled: 1-line block ×3, first 2 shown]
	s_waitcnt lgkmcnt(0)
	; wave barrier
	s_waitcnt lgkmcnt(0)
	ds_write2_b32 v85, v10, v15 offset1:2
	v_lshrrev_b32_e32 v10, 16, v13
	v_mul_f16_sdwa v15, v13, v81 dst_sel:DWORD dst_unused:UNUSED_PAD src0_sel:DWORD src1_sel:WORD_1
	v_fma_f16 v15, v10, v81, v15
	v_mul_f16_sdwa v10, v10, v81 dst_sel:DWORD dst_unused:UNUSED_PAD src0_sel:DWORD src1_sel:WORD_1
	v_fma_f16 v10, v13, v81, -v10
	v_lshrrev_b32_e32 v13, 16, v11
	v_sub_f16_e32 v10, v11, v10
	v_sub_f16_e32 v15, v13, v15
	v_fma_f16 v11, v11, 2.0, -v10
	v_fma_f16 v13, v13, 2.0, -v15
	v_pack_b32_f16 v11, v11, v13
	v_pack_b32_f16 v13, v10, v15
	s_movk_i32 s0, 0xfc
	v_lshlrev_b32_e32 v10, 1, v2
	v_and_or_b32 v15, v10, s0, v30
	v_lshlrev_b32_e32 v86, 2, v15
	ds_write2_b32 v86, v11, v13 offset1:2
	v_lshrrev_b32_e32 v11, 16, v14
	v_mul_f16_sdwa v13, v11, v81 dst_sel:DWORD dst_unused:UNUSED_PAD src0_sel:DWORD src1_sel:WORD_1
	v_fma_f16 v13, v14, v81, -v13
	v_mul_f16_sdwa v14, v14, v81 dst_sel:DWORD dst_unused:UNUSED_PAD src0_sel:DWORD src1_sel:WORD_1
	v_fma_f16 v11, v11, v81, v14
	v_lshrrev_b32_e32 v14, 16, v18
	v_sub_f16_e32 v13, v18, v13
	v_sub_f16_e32 v11, v14, v11
	v_fma_f16 v14, v14, 2.0, -v11
	v_fma_f16 v15, v18, 2.0, -v13
	v_pack_b32_f16 v13, v13, v11
	s_movk_i32 s0, 0x1fc
	v_lshlrev_b32_e32 v11, 1, v0
	v_pack_b32_f16 v14, v15, v14
	v_and_or_b32 v15, v11, s0, v30
	v_lshlrev_b32_e32 v87, 2, v15
	ds_write2_b32 v87, v14, v13 offset1:2
	v_lshrrev_b32_e32 v13, 16, v20
	v_mul_f16_sdwa v14, v20, v81 dst_sel:DWORD dst_unused:UNUSED_PAD src0_sel:DWORD src1_sel:WORD_1
	v_fma_f16 v14, v13, v81, v14
	v_mul_f16_sdwa v13, v13, v81 dst_sel:DWORD dst_unused:UNUSED_PAD src0_sel:DWORD src1_sel:WORD_1
	v_fma_f16 v13, v20, v81, -v13
	v_lshrrev_b32_e32 v15, 16, v19
	v_sub_f16_e32 v13, v19, v13
	v_sub_f16_e32 v14, v15, v14
	v_fma_f16 v17, v19, 2.0, -v13
	v_fma_f16 v15, v15, 2.0, -v14
	v_pack_b32_f16 v14, v13, v14
	v_lshlrev_b32_e32 v13, 1, v5
	v_pack_b32_f16 v15, v17, v15
	v_and_or_b32 v17, v13, s0, v30
	v_lshlrev_b32_e32 v88, 2, v17
	ds_write2_b32 v88, v15, v14 offset1:2
	v_lshrrev_b32_e32 v14, 16, v21
	v_mul_f16_sdwa v15, v14, v81 dst_sel:DWORD dst_unused:UNUSED_PAD src0_sel:DWORD src1_sel:WORD_1
	v_mul_f16_sdwa v17, v21, v81 dst_sel:DWORD dst_unused:UNUSED_PAD src0_sel:DWORD src1_sel:WORD_1
	v_fma_f16 v15, v21, v81, -v15
	v_fma_f16 v14, v14, v81, v17
	v_lshrrev_b32_e32 v17, 16, v22
	v_sub_f16_e32 v15, v22, v15
	v_sub_f16_e32 v14, v17, v14
	v_fma_f16 v17, v17, 2.0, -v14
	v_fma_f16 v18, v22, 2.0, -v15
	v_pack_b32_f16 v15, v15, v14
	s_movk_i32 s0, 0x3fc
	v_lshlrev_b32_e32 v14, 1, v6
	v_pack_b32_f16 v17, v18, v17
	v_and_or_b32 v18, v14, s0, v30
	v_lshlrev_b32_e32 v89, 2, v18
	ds_write2_b32 v89, v17, v15 offset1:2
	v_lshrrev_b32_e32 v15, 16, v24
	v_mul_f16_sdwa v17, v24, v81 dst_sel:DWORD dst_unused:UNUSED_PAD src0_sel:DWORD src1_sel:WORD_1
	v_fma_f16 v17, v15, v81, v17
	v_mul_f16_sdwa v15, v15, v81 dst_sel:DWORD dst_unused:UNUSED_PAD src0_sel:DWORD src1_sel:WORD_1
	v_fma_f16 v15, v24, v81, -v15
	v_lshrrev_b32_e32 v18, 16, v23
	v_sub_f16_e32 v15, v23, v15
	v_sub_f16_e32 v17, v18, v17
	v_fma_f16 v19, v23, 2.0, -v15
	v_fma_f16 v18, v18, 2.0, -v17
	v_pack_b32_f16 v17, v15, v17
	v_lshlrev_b32_e32 v15, 1, v8
	v_pack_b32_f16 v18, v19, v18
	v_and_or_b32 v19, v15, s1, v30
	v_lshlrev_b32_e32 v91, 2, v19
	ds_write2_b32 v91, v18, v17 offset1:2
	v_lshrrev_b32_e32 v17, 16, v25
	v_mul_f16_sdwa v18, v17, v81 dst_sel:DWORD dst_unused:UNUSED_PAD src0_sel:DWORD src1_sel:WORD_1
	v_mul_f16_sdwa v19, v25, v81 dst_sel:DWORD dst_unused:UNUSED_PAD src0_sel:DWORD src1_sel:WORD_1
	v_fma_f16 v18, v25, v81, -v18
	v_fma_f16 v17, v17, v81, v19
	v_lshrrev_b32_e32 v19, 16, v26
	v_sub_f16_e32 v18, v26, v18
	v_sub_f16_e32 v17, v19, v17
	v_fma_f16 v19, v19, 2.0, -v17
	v_fma_f16 v20, v26, 2.0, -v18
	v_pack_b32_f16 v17, v18, v17
	v_and_or_b32 v18, v134, s0, v30
	v_pack_b32_f16 v19, v20, v19
	v_lshlrev_b32_e32 v92, 2, v18
	ds_write2_b32 v92, v19, v17 offset1:2
	v_lshrrev_b32_e32 v17, 16, v28
	v_mul_f16_sdwa v18, v28, v81 dst_sel:DWORD dst_unused:UNUSED_PAD src0_sel:DWORD src1_sel:WORD_1
	v_fma_f16 v18, v17, v81, v18
	v_mul_f16_sdwa v17, v17, v81 dst_sel:DWORD dst_unused:UNUSED_PAD src0_sel:DWORD src1_sel:WORD_1
	v_fma_f16 v17, v28, v81, -v17
	v_lshrrev_b32_e32 v19, 16, v27
	v_sub_f16_e32 v17, v27, v17
	v_sub_f16_e32 v18, v19, v18
	v_fma_f16 v20, v27, 2.0, -v17
	v_fma_f16 v19, v19, 2.0, -v18
	v_pack_b32_f16 v17, v17, v18
	v_and_or_b32 v18, v135, s0, v30
	v_pack_b32_f16 v19, v20, v19
	v_lshlrev_b32_e32 v93, 2, v18
	ds_write2_b32 v93, v19, v17 offset1:2
	v_lshrrev_b32_e32 v17, 16, v29
	v_mul_f16_sdwa v18, v17, v81 dst_sel:DWORD dst_unused:UNUSED_PAD src0_sel:DWORD src1_sel:WORD_1
	v_mul_f16_sdwa v19, v29, v81 dst_sel:DWORD dst_unused:UNUSED_PAD src0_sel:DWORD src1_sel:WORD_1
	v_fma_f16 v18, v29, v81, -v18
	v_fma_f16 v17, v17, v81, v19
	v_lshrrev_b32_e32 v19, 16, v16
	v_sub_f16_e32 v18, v16, v18
	v_sub_f16_e32 v17, v19, v17
	v_fma_f16 v16, v16, 2.0, -v18
	v_fma_f16 v19, v19, 2.0, -v17
	v_pack_b32_f16 v19, v16, v19
	v_lshlrev_b32_e32 v16, 1, v57
	v_pack_b32_f16 v17, v18, v17
	v_and_or_b32 v18, v16, s0, v30
	v_lshlrev_b32_e32 v94, 2, v18
	ds_write2_b32 v94, v19, v17 offset1:2
	v_lshlrev_b32_e32 v17, 2, v33
	s_waitcnt lgkmcnt(0)
	; wave barrier
	s_waitcnt lgkmcnt(0)
	global_load_dword v90, v17, s[14:15] offset:8
	ds_read2_b32 v[17:18], v4 offset0:192 offset1:248
	ds_read2_b32 v[19:20], v62 offset1:56
	s_movk_i32 s0, 0x78
	v_and_or_b32 v36, v9, s0, v33
	v_lshlrev_b32_e32 v95, 2, v36
	s_waitcnt lgkmcnt(1)
	v_lshrrev_b32_e32 v21, 16, v18
	s_movk_i32 s0, 0xf8
	s_movk_i32 s1, 0x2f8
	s_waitcnt vmcnt(0)
	v_mul_f16_sdwa v22, v18, v90 dst_sel:DWORD dst_unused:UNUSED_PAD src0_sel:DWORD src1_sel:WORD_1
	v_fma_f16 v22, v21, v90, v22
	v_mul_f16_sdwa v21, v21, v90 dst_sel:DWORD dst_unused:UNUSED_PAD src0_sel:DWORD src1_sel:WORD_1
	v_fma_f16 v18, v18, v90, -v21
	s_waitcnt lgkmcnt(0)
	v_lshrrev_b32_e32 v21, 16, v19
	v_sub_f16_e32 v18, v19, v18
	v_sub_f16_e32 v22, v21, v22
	v_fma_f16 v21, v21, 2.0, -v22
	v_fma_f16 v19, v19, 2.0, -v18
	v_pack_b32_f16 v34, v19, v21
	v_pack_b32_f16 v35, v18, v22
	ds_read2_b32 v[18:19], v1 offset0:48 offset1:104
	ds_read2_b32 v[21:22], v62 offset0:112 offset1:168
	;; [unrolled: 1-line block ×7, first 2 shown]
	s_waitcnt lgkmcnt(0)
	; wave barrier
	s_waitcnt lgkmcnt(0)
	ds_write2_b32 v95, v34, v35 offset1:4
	v_lshrrev_b32_e32 v34, 16, v18
	v_mul_f16_sdwa v35, v18, v90 dst_sel:DWORD dst_unused:UNUSED_PAD src0_sel:DWORD src1_sel:WORD_1
	v_fma_f16 v35, v34, v90, v35
	v_mul_f16_sdwa v34, v34, v90 dst_sel:DWORD dst_unused:UNUSED_PAD src0_sel:DWORD src1_sel:WORD_1
	v_fma_f16 v18, v18, v90, -v34
	v_lshrrev_b32_e32 v34, 16, v20
	v_sub_f16_e32 v18, v20, v18
	v_sub_f16_e32 v35, v34, v35
	v_fma_f16 v20, v20, 2.0, -v18
	v_fma_f16 v34, v34, 2.0, -v35
	v_pack_b32_f16 v20, v20, v34
	v_and_or_b32 v34, v10, s0, v33
	v_pack_b32_f16 v18, v18, v35
	v_lshlrev_b32_e32 v96, 2, v34
	ds_write2_b32 v96, v20, v18 offset1:4
	v_lshrrev_b32_e32 v18, 16, v19
	v_mul_f16_sdwa v20, v18, v90 dst_sel:DWORD dst_unused:UNUSED_PAD src0_sel:DWORD src1_sel:WORD_1
	v_fma_f16 v20, v19, v90, -v20
	v_mul_f16_sdwa v19, v19, v90 dst_sel:DWORD dst_unused:UNUSED_PAD src0_sel:DWORD src1_sel:WORD_1
	v_fma_f16 v18, v18, v90, v19
	v_sub_f16_e32 v19, v21, v20
	v_lshrrev_b32_e32 v20, 16, v21
	v_sub_f16_e32 v18, v20, v18
	s_movk_i32 s0, 0x1f8
	v_fma_f16 v20, v20, 2.0, -v18
	v_fma_f16 v21, v21, 2.0, -v19
	v_pack_b32_f16 v18, v19, v18
	v_and_or_b32 v19, v11, s0, v33
	v_pack_b32_f16 v20, v21, v20
	v_lshlrev_b32_e32 v97, 2, v19
	ds_write2_b32 v97, v20, v18 offset1:4
	v_lshrrev_b32_e32 v18, 16, v23
	v_mul_f16_sdwa v19, v23, v90 dst_sel:DWORD dst_unused:UNUSED_PAD src0_sel:DWORD src1_sel:WORD_1
	v_fma_f16 v19, v18, v90, v19
	v_mul_f16_sdwa v18, v18, v90 dst_sel:DWORD dst_unused:UNUSED_PAD src0_sel:DWORD src1_sel:WORD_1
	v_fma_f16 v18, v23, v90, -v18
	v_lshrrev_b32_e32 v20, 16, v22
	v_sub_f16_e32 v18, v22, v18
	v_sub_f16_e32 v19, v20, v19
	v_fma_f16 v21, v22, 2.0, -v18
	v_fma_f16 v20, v20, 2.0, -v19
	v_pack_b32_f16 v18, v18, v19
	v_and_or_b32 v19, v13, s0, v33
	v_pack_b32_f16 v20, v21, v20
	v_lshlrev_b32_e32 v98, 2, v19
	ds_write2_b32 v98, v20, v18 offset1:4
	v_lshrrev_b32_e32 v18, 16, v24
	v_mul_f16_sdwa v19, v18, v90 dst_sel:DWORD dst_unused:UNUSED_PAD src0_sel:DWORD src1_sel:WORD_1
	v_mul_f16_sdwa v20, v24, v90 dst_sel:DWORD dst_unused:UNUSED_PAD src0_sel:DWORD src1_sel:WORD_1
	v_fma_f16 v19, v24, v90, -v19
	v_fma_f16 v18, v18, v90, v20
	v_lshrrev_b32_e32 v20, 16, v25
	v_sub_f16_e32 v19, v25, v19
	v_sub_f16_e32 v18, v20, v18
	s_movk_i32 s0, 0x3f8
	v_fma_f16 v20, v20, 2.0, -v18
	v_fma_f16 v21, v25, 2.0, -v19
	v_pack_b32_f16 v18, v19, v18
	v_and_or_b32 v19, v14, s0, v33
	v_pack_b32_f16 v20, v21, v20
	v_lshlrev_b32_e32 v99, 2, v19
	ds_write2_b32 v99, v20, v18 offset1:4
	v_lshrrev_b32_e32 v18, 16, v27
	v_mul_f16_sdwa v19, v27, v90 dst_sel:DWORD dst_unused:UNUSED_PAD src0_sel:DWORD src1_sel:WORD_1
	v_fma_f16 v19, v18, v90, v19
	v_mul_f16_sdwa v18, v18, v90 dst_sel:DWORD dst_unused:UNUSED_PAD src0_sel:DWORD src1_sel:WORD_1
	v_fma_f16 v18, v27, v90, -v18
	v_lshrrev_b32_e32 v20, 16, v26
	v_sub_f16_e32 v18, v26, v18
	v_sub_f16_e32 v19, v20, v19
	v_fma_f16 v21, v26, 2.0, -v18
	v_fma_f16 v20, v20, 2.0, -v19
	v_pack_b32_f16 v18, v18, v19
	v_and_or_b32 v19, v15, s1, v33
	v_pack_b32_f16 v20, v21, v20
	v_lshlrev_b32_e32 v101, 2, v19
	ds_write2_b32 v101, v20, v18 offset1:4
	v_lshrrev_b32_e32 v18, 16, v28
	v_mul_f16_sdwa v19, v18, v90 dst_sel:DWORD dst_unused:UNUSED_PAD src0_sel:DWORD src1_sel:WORD_1
	v_mul_f16_sdwa v20, v28, v90 dst_sel:DWORD dst_unused:UNUSED_PAD src0_sel:DWORD src1_sel:WORD_1
	v_fma_f16 v19, v28, v90, -v19
	v_fma_f16 v18, v18, v90, v20
	v_lshrrev_b32_e32 v20, 16, v29
	v_sub_f16_e32 v19, v29, v19
	v_sub_f16_e32 v18, v20, v18
	v_fma_f16 v20, v20, 2.0, -v18
	v_fma_f16 v21, v29, 2.0, -v19
	v_pack_b32_f16 v18, v19, v18
	v_and_or_b32 v19, v134, s0, v33
	v_pack_b32_f16 v20, v21, v20
	v_lshlrev_b32_e32 v102, 2, v19
	ds_write2_b32 v102, v20, v18 offset1:4
	v_lshrrev_b32_e32 v18, 16, v31
	v_mul_f16_sdwa v19, v31, v90 dst_sel:DWORD dst_unused:UNUSED_PAD src0_sel:DWORD src1_sel:WORD_1
	v_fma_f16 v19, v18, v90, v19
	v_mul_f16_sdwa v18, v18, v90 dst_sel:DWORD dst_unused:UNUSED_PAD src0_sel:DWORD src1_sel:WORD_1
	v_fma_f16 v18, v31, v90, -v18
	v_lshrrev_b32_e32 v20, 16, v30
	v_sub_f16_e32 v18, v30, v18
	v_sub_f16_e32 v19, v20, v19
	v_fma_f16 v21, v30, 2.0, -v18
	v_fma_f16 v20, v20, 2.0, -v19
	v_pack_b32_f16 v18, v18, v19
	v_and_or_b32 v19, v135, s0, v33
	v_pack_b32_f16 v20, v21, v20
	v_lshlrev_b32_e32 v103, 2, v19
	ds_write2_b32 v103, v20, v18 offset1:4
	v_lshrrev_b32_e32 v18, 16, v32
	v_mul_f16_sdwa v19, v18, v90 dst_sel:DWORD dst_unused:UNUSED_PAD src0_sel:DWORD src1_sel:WORD_1
	v_mul_f16_sdwa v20, v32, v90 dst_sel:DWORD dst_unused:UNUSED_PAD src0_sel:DWORD src1_sel:WORD_1
	v_fma_f16 v19, v32, v90, -v19
	v_fma_f16 v18, v18, v90, v20
	v_lshrrev_b32_e32 v20, 16, v17
	v_sub_f16_e32 v19, v17, v19
	v_sub_f16_e32 v18, v20, v18
	v_fma_f16 v17, v17, 2.0, -v19
	v_fma_f16 v20, v20, 2.0, -v18
	v_pack_b32_f16 v18, v19, v18
	v_and_or_b32 v19, v16, s0, v33
	v_pack_b32_f16 v17, v17, v20
	v_lshlrev_b32_e32 v104, 2, v19
	v_and_b32_e32 v33, 7, v75
	ds_write2_b32 v104, v17, v18 offset1:4
	v_lshlrev_b32_e32 v17, 2, v33
	s_waitcnt lgkmcnt(0)
	; wave barrier
	s_waitcnt lgkmcnt(0)
	global_load_dword v100, v17, s[14:15] offset:24
	ds_read2_b32 v[17:18], v4 offset0:192 offset1:248
	ds_read2_b32 v[19:20], v62 offset1:56
	v_and_or_b32 v9, v9, s2, v33
	v_lshlrev_b32_e32 v105, 2, v9
	s_movk_i32 s0, 0xf0
	s_waitcnt lgkmcnt(1)
	v_lshrrev_b32_e32 v21, 16, v18
	v_and_or_b32 v10, v10, s0, v33
	v_lshlrev_b32_e32 v106, 2, v10
	s_movk_i32 s0, 0x1f0
	s_movk_i32 s1, 0x2f0
	s_mov_b32 s2, 0xaaab
	s_waitcnt vmcnt(0)
	v_mul_f16_sdwa v22, v18, v100 dst_sel:DWORD dst_unused:UNUSED_PAD src0_sel:DWORD src1_sel:WORD_1
	v_fma_f16 v22, v21, v100, v22
	v_mul_f16_sdwa v21, v21, v100 dst_sel:DWORD dst_unused:UNUSED_PAD src0_sel:DWORD src1_sel:WORD_1
	v_fma_f16 v18, v18, v100, -v21
	s_waitcnt lgkmcnt(0)
	v_lshrrev_b32_e32 v21, 16, v19
	v_sub_f16_e32 v18, v19, v18
	v_sub_f16_e32 v22, v21, v22
	v_fma_f16 v21, v21, 2.0, -v22
	v_fma_f16 v19, v19, 2.0, -v18
	v_pack_b32_f16 v34, v19, v21
	v_pack_b32_f16 v35, v18, v22
	ds_read2_b32 v[18:19], v1 offset0:48 offset1:104
	ds_read2_b32 v[21:22], v62 offset0:112 offset1:168
	;; [unrolled: 1-line block ×7, first 2 shown]
	s_waitcnt lgkmcnt(0)
	; wave barrier
	s_waitcnt lgkmcnt(0)
	ds_write2_b32 v105, v34, v35 offset1:8
	v_lshrrev_b32_e32 v9, 16, v18
	v_mul_f16_sdwa v34, v18, v100 dst_sel:DWORD dst_unused:UNUSED_PAD src0_sel:DWORD src1_sel:WORD_1
	v_fma_f16 v34, v9, v100, v34
	v_mul_f16_sdwa v9, v9, v100 dst_sel:DWORD dst_unused:UNUSED_PAD src0_sel:DWORD src1_sel:WORD_1
	v_fma_f16 v9, v18, v100, -v9
	v_lshrrev_b32_e32 v18, 16, v20
	v_sub_f16_e32 v9, v20, v9
	v_sub_f16_e32 v34, v18, v34
	v_fma_f16 v20, v20, 2.0, -v9
	v_fma_f16 v18, v18, 2.0, -v34
	v_pack_b32_f16 v18, v20, v18
	v_pack_b32_f16 v9, v9, v34
	ds_write2_b32 v106, v18, v9 offset1:8
	v_lshrrev_b32_e32 v9, 16, v19
	v_mul_f16_sdwa v10, v9, v100 dst_sel:DWORD dst_unused:UNUSED_PAD src0_sel:DWORD src1_sel:WORD_1
	v_mul_f16_sdwa v18, v19, v100 dst_sel:DWORD dst_unused:UNUSED_PAD src0_sel:DWORD src1_sel:WORD_1
	v_fma_f16 v10, v19, v100, -v10
	v_fma_f16 v9, v9, v100, v18
	v_lshrrev_b32_e32 v18, 16, v21
	v_sub_f16_e32 v10, v21, v10
	v_sub_f16_e32 v9, v18, v9
	v_fma_f16 v18, v18, 2.0, -v9
	v_fma_f16 v19, v21, 2.0, -v10
	v_pack_b32_f16 v9, v10, v9
	v_and_or_b32 v10, v11, s0, v33
	v_pack_b32_f16 v18, v19, v18
	v_lshlrev_b32_e32 v107, 2, v10
	ds_write2_b32 v107, v18, v9 offset1:8
	v_lshrrev_b32_e32 v9, 16, v23
	v_mul_f16_sdwa v10, v23, v100 dst_sel:DWORD dst_unused:UNUSED_PAD src0_sel:DWORD src1_sel:WORD_1
	v_fma_f16 v10, v9, v100, v10
	v_mul_f16_sdwa v9, v9, v100 dst_sel:DWORD dst_unused:UNUSED_PAD src0_sel:DWORD src1_sel:WORD_1
	v_fma_f16 v9, v23, v100, -v9
	v_lshrrev_b32_e32 v11, 16, v22
	v_sub_f16_e32 v9, v22, v9
	v_sub_f16_e32 v10, v11, v10
	v_fma_f16 v18, v22, 2.0, -v9
	v_fma_f16 v11, v11, 2.0, -v10
	v_pack_b32_f16 v9, v9, v10
	v_and_or_b32 v10, v13, s0, v33
	v_pack_b32_f16 v11, v18, v11
	v_lshlrev_b32_e32 v108, 2, v10
	ds_write2_b32 v108, v11, v9 offset1:8
	v_lshrrev_b32_e32 v9, 16, v24
	v_mul_f16_sdwa v10, v9, v100 dst_sel:DWORD dst_unused:UNUSED_PAD src0_sel:DWORD src1_sel:WORD_1
	v_mul_f16_sdwa v11, v24, v100 dst_sel:DWORD dst_unused:UNUSED_PAD src0_sel:DWORD src1_sel:WORD_1
	v_fma_f16 v10, v24, v100, -v10
	v_fma_f16 v9, v9, v100, v11
	v_lshrrev_b32_e32 v11, 16, v25
	v_sub_f16_e32 v10, v25, v10
	v_sub_f16_e32 v9, v11, v9
	s_movk_i32 s0, 0x3f0
	v_fma_f16 v11, v11, 2.0, -v9
	v_fma_f16 v13, v25, 2.0, -v10
	v_pack_b32_f16 v9, v10, v9
	v_and_or_b32 v10, v14, s0, v33
	v_pack_b32_f16 v11, v13, v11
	v_lshlrev_b32_e32 v109, 2, v10
	ds_write2_b32 v109, v11, v9 offset1:8
	v_lshrrev_b32_e32 v9, 16, v27
	v_mul_f16_sdwa v10, v27, v100 dst_sel:DWORD dst_unused:UNUSED_PAD src0_sel:DWORD src1_sel:WORD_1
	v_fma_f16 v10, v9, v100, v10
	v_mul_f16_sdwa v9, v9, v100 dst_sel:DWORD dst_unused:UNUSED_PAD src0_sel:DWORD src1_sel:WORD_1
	v_fma_f16 v9, v27, v100, -v9
	v_lshrrev_b32_e32 v11, 16, v26
	v_sub_f16_e32 v9, v26, v9
	v_sub_f16_e32 v10, v11, v10
	v_fma_f16 v13, v26, 2.0, -v9
	v_fma_f16 v11, v11, 2.0, -v10
	v_pack_b32_f16 v9, v9, v10
	v_and_or_b32 v10, v15, s1, v33
	v_pack_b32_f16 v11, v13, v11
	v_lshlrev_b32_e32 v110, 2, v10
	ds_write2_b32 v110, v11, v9 offset1:8
	v_lshrrev_b32_e32 v9, 16, v28
	v_mul_f16_sdwa v10, v9, v100 dst_sel:DWORD dst_unused:UNUSED_PAD src0_sel:DWORD src1_sel:WORD_1
	v_mul_f16_sdwa v11, v28, v100 dst_sel:DWORD dst_unused:UNUSED_PAD src0_sel:DWORD src1_sel:WORD_1
	v_fma_f16 v10, v28, v100, -v10
	v_fma_f16 v9, v9, v100, v11
	v_lshrrev_b32_e32 v11, 16, v29
	v_sub_f16_e32 v10, v29, v10
	v_sub_f16_e32 v9, v11, v9
	v_fma_f16 v11, v11, 2.0, -v9
	v_fma_f16 v13, v29, 2.0, -v10
	v_pack_b32_f16 v9, v10, v9
	v_and_or_b32 v10, v134, s0, v33
	v_pack_b32_f16 v11, v13, v11
	v_lshlrev_b32_e32 v111, 2, v10
	ds_write2_b32 v111, v11, v9 offset1:8
	v_lshrrev_b32_e32 v9, 16, v31
	v_mul_f16_sdwa v10, v31, v100 dst_sel:DWORD dst_unused:UNUSED_PAD src0_sel:DWORD src1_sel:WORD_1
	v_fma_f16 v10, v9, v100, v10
	v_mul_f16_sdwa v9, v9, v100 dst_sel:DWORD dst_unused:UNUSED_PAD src0_sel:DWORD src1_sel:WORD_1
	v_fma_f16 v9, v31, v100, -v9
	v_lshrrev_b32_e32 v11, 16, v30
	v_sub_f16_e32 v9, v30, v9
	v_sub_f16_e32 v10, v11, v10
	v_fma_f16 v13, v30, 2.0, -v9
	v_fma_f16 v11, v11, 2.0, -v10
	v_pack_b32_f16 v9, v9, v10
	v_and_or_b32 v10, v135, s0, v33
	v_pack_b32_f16 v11, v13, v11
	v_lshlrev_b32_e32 v112, 2, v10
	ds_write2_b32 v112, v11, v9 offset1:8
	v_lshrrev_b32_e32 v9, 16, v32
	v_mul_f16_sdwa v10, v9, v100 dst_sel:DWORD dst_unused:UNUSED_PAD src0_sel:DWORD src1_sel:WORD_1
	v_mul_f16_sdwa v11, v32, v100 dst_sel:DWORD dst_unused:UNUSED_PAD src0_sel:DWORD src1_sel:WORD_1
	v_fma_f16 v10, v32, v100, -v10
	v_fma_f16 v9, v9, v100, v11
	v_lshrrev_b32_e32 v11, 16, v17
	v_sub_f16_e32 v10, v17, v10
	v_sub_f16_e32 v9, v11, v9
	v_fma_f16 v13, v17, 2.0, -v10
	v_and_or_b32 v14, v16, s0, v33
	v_fma_f16 v11, v11, 2.0, -v9
	v_pack_b32_f16 v11, v13, v11
	v_pack_b32_f16 v9, v10, v9
	v_lshlrev_b32_e32 v113, 2, v14
	ds_write2_b32 v113, v11, v9 offset1:8
	v_and_b32_e32 v11, 15, v75
	v_lshlrev_b32_e32 v9, 3, v11
	s_waitcnt lgkmcnt(0)
	; wave barrier
	s_waitcnt lgkmcnt(0)
	global_load_dwordx2 v[13:14], v9, s[14:15] offset:56
	v_and_b32_e32 v32, 15, v8
	v_and_b32_e32 v31, 15, v2
	v_lshlrev_b32_e32 v10, 3, v32
	v_and_b32_e32 v33, 15, v5
	v_lshlrev_b32_e32 v9, 3, v31
	v_lshlrev_b32_e32 v19, 3, v33
	global_load_dword v116, v10, s[14:15] offset:58
	global_load_dword v114, v10, s[14:15] offset:60
	global_load_ushort v115, v10, s[14:15] offset:62
	global_load_ushort v120, v19, s[14:15] offset:56
	global_load_dword v119, v10, s[14:15] offset:56
	global_load_ushort v123, v9, s[14:15] offset:56
	global_load_ushort v122, v19, s[14:15] offset:58
	ds_read2_b32 v[9:10], v4 offset0:80 offset1:136
	ds_read2_b32 v[15:16], v1 offset0:160 offset1:216
	ds_read2_b32 v[17:18], v62 offset1:56
	global_load_ushort v125, v19, s[14:15] offset:60
	global_load_ushort v126, v19, s[14:15] offset:62
	s_movk_i32 s0, 0x3aee
	s_waitcnt lgkmcnt(2)
	v_lshrrev_b32_e32 v20, 16, v9
	s_waitcnt lgkmcnt(1)
	v_lshrrev_b32_e32 v22, 16, v15
	;; [unrolled: 2-line block ×3, first 2 shown]
	s_mov_b32 s1, 0xbaee
	v_or_b32_e32 v37, v37, v11
	v_lshlrev_b32_e32 v117, 2, v37
	s_waitcnt vmcnt(9)
	v_mul_f16_sdwa v21, v9, v13 dst_sel:DWORD dst_unused:UNUSED_PAD src0_sel:DWORD src1_sel:WORD_1
	v_fma_f16 v21, v20, v13, v21
	v_mul_f16_sdwa v23, v15, v14 dst_sel:DWORD dst_unused:UNUSED_PAD src0_sel:DWORD src1_sel:WORD_1
	v_mul_f16_sdwa v20, v20, v13 dst_sel:DWORD dst_unused:UNUSED_PAD src0_sel:DWORD src1_sel:WORD_1
	v_fma_f16 v23, v22, v14, v23
	v_fma_f16 v9, v9, v13, -v20
	v_mul_f16_sdwa v20, v22, v14 dst_sel:DWORD dst_unused:UNUSED_PAD src0_sel:DWORD src1_sel:WORD_1
	v_add_f16_e32 v25, v24, v21
	v_sub_f16_e32 v34, v21, v23
	v_add_f16_e32 v21, v21, v23
	v_fma_f16 v15, v15, v14, -v20
	v_fma_f16 v35, v21, -0.5, v24
	v_add_f16_e32 v20, v17, v9
	v_add_f16_e32 v21, v9, v15
	;; [unrolled: 1-line block ×4, first 2 shown]
	v_sub_f16_e32 v9, v9, v15
	v_fma_f16 v17, v21, -0.5, v17
	v_pack_b32_f16 v15, v20, v25
	v_fma_f16 v20, v34, s0, v17
	v_fma_f16 v21, v9, s1, v35
	v_pack_b32_f16 v36, v20, v21
	ds_read2_b32 v[19:20], v62 offset0:112 offset1:168
	ds_read2_b32 v[21:22], v4 offset0:192 offset1:248
	;; [unrolled: 1-line block ×6, first 2 shown]
	s_waitcnt lgkmcnt(0)
	; wave barrier
	s_waitcnt lgkmcnt(0)
	ds_write2_b32 v117, v15, v36 offset1:16
	v_lshrrev_b32_e32 v15, 16, v10
	s_waitcnt vmcnt(4)
	v_mul_f16_sdwa v36, v15, v119 dst_sel:DWORD dst_unused:UNUSED_PAD src0_sel:DWORD src1_sel:WORD_1
	s_waitcnt vmcnt(3)
	v_fma_f16 v36, v10, v123, -v36
	v_mul_f16_sdwa v10, v10, v119 dst_sel:DWORD dst_unused:UNUSED_PAD src0_sel:DWORD src1_sel:WORD_1
	v_fma_f16 v10, v15, v123, v10
	v_lshrrev_b32_e32 v15, 16, v16
	v_lshrrev_b32_e32 v128, 16, v116
	v_mul_f16_sdwa v37, v15, v114 dst_sel:DWORD dst_unused:UNUSED_PAD src0_sel:DWORD src1_sel:WORD_1
	v_fma_f16 v37, v16, v128, -v37
	v_mul_f16_sdwa v16, v16, v114 dst_sel:DWORD dst_unused:UNUSED_PAD src0_sel:DWORD src1_sel:WORD_1
	v_fma_f16 v15, v15, v128, v16
	v_fma_f16 v16, v34, s1, v17
	;; [unrolled: 1-line block ×3, first 2 shown]
	v_add_f16_e32 v17, v36, v37
	v_lshrrev_b32_e32 v34, 16, v18
	v_pack_b32_f16 v9, v16, v9
	v_fma_f16 v17, v17, -0.5, v18
	v_add_f16_e32 v18, v18, v36
	v_add_f16_e32 v35, v34, v10
	v_sub_f16_e32 v38, v10, v15
	v_add_f16_e32 v10, v10, v15
	ds_write_b32 v117, v9 offset:128
	v_lshrrev_b32_e32 v9, 4, v2
	v_add_f16_e32 v35, v35, v15
	v_fma_f16 v10, v10, -0.5, v34
	v_add_f16_e32 v15, v18, v37
	v_sub_f16_e32 v18, v36, v37
	v_mul_u32_u24_e32 v9, 48, v9
	v_or_b32_e32 v9, v9, v31
	v_fma_f16 v16, v38, s0, v17
	v_fma_f16 v31, v18, s1, v10
	v_pack_b32_f16 v15, v15, v35
	v_pack_b32_f16 v16, v16, v31
	v_lshlrev_b32_e32 v118, 2, v9
	ds_write2_b32 v118, v15, v16 offset1:16
	v_fma_f16 v9, v38, s1, v17
	v_fma_f16 v10, v18, s0, v10
	v_lshrrev_b32_e32 v15, 16, v21
	v_mul_f16_sdwa v16, v21, v13 dst_sel:DWORD dst_unused:UNUSED_PAD src0_sel:DWORD src1_sel:WORD_1
	v_lshrrev_b32_e32 v17, 16, v23
	v_mul_f16_sdwa v18, v23, v14 dst_sel:DWORD dst_unused:UNUSED_PAD src0_sel:DWORD src1_sel:WORD_1
	v_fma_f16 v16, v15, v13, v16
	v_fma_f16 v18, v17, v14, v18
	v_lshrrev_b32_e32 v31, 16, v19
	v_mul_f16_sdwa v15, v15, v13 dst_sel:DWORD dst_unused:UNUSED_PAD src0_sel:DWORD src1_sel:WORD_1
	v_mul_f16_sdwa v17, v17, v14 dst_sel:DWORD dst_unused:UNUSED_PAD src0_sel:DWORD src1_sel:WORD_1
	v_add_f16_e32 v34, v31, v16
	v_fma_f16 v15, v21, v13, -v15
	v_fma_f16 v17, v23, v14, -v17
	v_add_f16_e32 v34, v34, v18
	v_sub_f16_e32 v35, v16, v18
	v_add_f16_e32 v16, v16, v18
	v_add_f16_e32 v18, v19, v15
	;; [unrolled: 1-line block ×3, first 2 shown]
	v_fma_f16 v16, v16, -0.5, v31
	v_add_f16_e32 v18, v18, v17
	v_sub_f16_e32 v15, v15, v17
	v_pack_b32_f16 v9, v9, v10
	v_fma_f16 v10, v21, -0.5, v19
	ds_write_b32 v118, v9 offset:128
	v_pack_b32_f16 v9, v18, v34
	v_fma_f16 v17, v35, s0, v10
	v_fma_f16 v18, v15, s1, v16
	v_pack_b32_f16 v17, v17, v18
	v_lshrrev_b32_e32 v18, 4, v0
	v_mul_u32_u24_e32 v18, 48, v18
	v_or_b32_e32 v18, v18, v11
	v_lshlrev_b32_e32 v121, 2, v18
	ds_write2_b32 v121, v9, v17 offset1:16
	v_lshrrev_b32_e32 v9, 16, v22
	s_waitcnt vmcnt(2)
	v_mul_f16_e32 v18, v22, v122
	v_mul_f16_e32 v17, v9, v122
	v_fma_f16 v9, v9, v120, v18
	v_lshrrev_b32_e32 v18, 16, v24
	s_waitcnt vmcnt(0)
	v_mul_f16_e32 v19, v18, v126
	v_fma_f16 v17, v22, v120, -v17
	v_fma_f16 v19, v24, v125, -v19
	v_mul_f16_e32 v21, v24, v126
	v_fma_f16 v10, v35, s1, v10
	v_fma_f16 v15, v15, s0, v16
	;; [unrolled: 1-line block ×3, first 2 shown]
	v_add_f16_e32 v16, v17, v19
	v_lshrrev_b32_e32 v21, 16, v20
	v_pack_b32_f16 v10, v10, v15
	v_fma_f16 v16, v16, -0.5, v20
	v_add_f16_e32 v20, v20, v17
	v_add_f16_e32 v22, v21, v9
	v_sub_f16_e32 v23, v9, v18
	v_add_f16_e32 v9, v9, v18
	ds_write_b32 v121, v10 offset:128
	v_lshrrev_b32_e32 v10, 4, v5
	v_add_f16_e32 v22, v22, v18
	v_fma_f16 v9, v9, -0.5, v21
	v_add_f16_e32 v18, v20, v19
	v_sub_f16_e32 v17, v17, v19
	v_mul_u32_u24_e32 v10, 48, v10
	v_or_b32_e32 v10, v10, v33
	v_pack_b32_f16 v15, v18, v22
	v_fma_f16 v18, v23, s0, v16
	v_fma_f16 v19, v17, s1, v9
	v_pack_b32_f16 v18, v18, v19
	v_lshlrev_b32_e32 v124, 2, v10
	ds_write2_b32 v124, v15, v18 offset1:16
	v_fma_f16 v10, v23, s1, v16
	v_fma_f16 v9, v17, s0, v9
	v_lshrrev_b32_e32 v15, 16, v27
	v_mul_f16_sdwa v16, v27, v13 dst_sel:DWORD dst_unused:UNUSED_PAD src0_sel:DWORD src1_sel:WORD_1
	v_lshrrev_b32_e32 v17, 16, v29
	v_mul_f16_sdwa v18, v29, v14 dst_sel:DWORD dst_unused:UNUSED_PAD src0_sel:DWORD src1_sel:WORD_1
	v_fma_f16 v16, v15, v13, v16
	v_fma_f16 v18, v17, v14, v18
	v_lshrrev_b32_e32 v19, 16, v25
	v_mul_f16_sdwa v15, v15, v13 dst_sel:DWORD dst_unused:UNUSED_PAD src0_sel:DWORD src1_sel:WORD_1
	v_mul_f16_sdwa v17, v17, v14 dst_sel:DWORD dst_unused:UNUSED_PAD src0_sel:DWORD src1_sel:WORD_1
	v_pack_b32_f16 v9, v10, v9
	v_add_f16_e32 v20, v19, v16
	v_sub_f16_e32 v21, v16, v18
	v_add_f16_e32 v16, v16, v18
	v_fma_f16 v15, v27, v13, -v15
	v_fma_f16 v17, v29, v14, -v17
	ds_write_b32 v124, v9 offset:128
	v_lshrrev_b32_e32 v9, 4, v6
	v_add_f16_e32 v20, v20, v18
	v_fma_f16 v16, v16, -0.5, v19
	v_add_f16_e32 v18, v25, v15
	v_add_f16_e32 v19, v15, v17
	v_mul_u32_u24_e32 v9, 48, v9
	v_add_f16_e32 v18, v18, v17
	v_sub_f16_e32 v15, v15, v17
	v_or_b32_e32 v9, v9, v11
	v_fma_f16 v11, v19, -0.5, v25
	v_pack_b32_f16 v10, v18, v20
	v_fma_f16 v17, v21, s0, v11
	v_fma_f16 v18, v15, s1, v16
	v_pack_b32_f16 v17, v17, v18
	v_lshlrev_b32_e32 v127, 2, v9
	ds_write2_b32 v127, v10, v17 offset1:16
	v_lshrrev_b32_e32 v9, 16, v28
	v_mul_f16_e32 v17, v28, v116
	v_mul_f16_e32 v10, v9, v116
	v_fma_f16 v9, v9, v119, v17
	v_lshrrev_b32_e32 v17, 16, v30
	v_mul_f16_e32 v18, v17, v115
	v_mul_f16_e32 v19, v30, v115
	v_fma_f16 v11, v21, s1, v11
	v_fma_f16 v15, v15, s0, v16
	v_fma_f16 v10, v28, v119, -v10
	v_fma_f16 v18, v30, v114, -v18
	v_fma_f16 v17, v17, v114, v19
	v_lshrrev_b32_e32 v19, 16, v26
	v_pack_b32_f16 v11, v11, v15
	v_add_f16_e32 v16, v10, v18
	v_add_f16_e32 v20, v26, v10
	;; [unrolled: 1-line block ×3, first 2 shown]
	v_sub_f16_e32 v22, v9, v17
	v_add_f16_e32 v9, v9, v17
	ds_write_b32 v127, v11 offset:128
	v_lshrrev_b32_e32 v11, 4, v8
	v_fma_f16 v16, v16, -0.5, v26
	v_add_f16_e32 v21, v21, v17
	v_fma_f16 v9, v9, -0.5, v19
	v_add_f16_e32 v17, v20, v18
	v_sub_f16_e32 v10, v10, v18
	v_mul_u32_u24_e32 v11, 48, v11
	v_or_b32_e32 v11, v11, v32
	v_pack_b32_f16 v15, v17, v21
	v_fma_f16 v17, v22, s0, v16
	v_fma_f16 v18, v10, s1, v9
	v_pack_b32_f16 v17, v17, v18
	v_lshlrev_b32_e32 v129, 2, v11
	ds_write2_b32 v129, v15, v17 offset1:16
	v_fma_f16 v15, v22, s1, v16
	v_fma_f16 v9, v10, s0, v9
	v_pack_b32_f16 v9, v15, v9
	ds_write_b32 v129, v9 offset:128
	v_mul_u32_u24_sdwa v9, v8, s2 dst_sel:DWORD dst_unused:UNUSED_PAD src0_sel:WORD_0 src1_sel:DWORD
	v_lshrrev_b32_e32 v41, 21, v9
	v_mul_lo_u16_e32 v9, 48, v41
	v_sub_u16_e32 v42, v8, v9
	v_lshlrev_b16_e32 v8, 3, v42
	v_mov_b32_e32 v11, s15
	v_add_co_u32_e32 v8, vcc, s14, v8
	v_addc_co_u32_e32 v9, vcc, 0, v11, vcc
	s_waitcnt lgkmcnt(0)
	; wave barrier
	s_waitcnt lgkmcnt(0)
	global_load_dwordx2 v[15:16], v[8:9], off offset:184
	v_add_co_u32_e32 v8, vcc, s3, v75
	s_movk_i32 s3, 0xab
	v_addc_co_u32_e64 v9, s[6:7], 0, -1, vcc
	v_cmp_gt_u16_e32 vcc, 48, v75
	v_mul_lo_u16_sdwa v17, v2, s3 dst_sel:DWORD dst_unused:UNUSED_PAD src0_sel:BYTE_0 src1_sel:DWORD
	v_cndmask_b32_e64 v9, v9, 0, vcc
	v_cndmask_b32_e32 v8, v8, v75, vcc
	v_lshrrev_b16_e32 v43, 13, v17
	v_lshlrev_b64 v[9:10], 3, v[8:9]
	v_mul_lo_u16_e32 v17, 48, v43
	v_sub_u16_e32 v2, v2, v17
	v_add_co_u32_e32 v9, vcc, s14, v9
	v_and_b32_e32 v2, 0xff, v2
	v_addc_co_u32_e32 v10, vcc, v11, v10, vcc
	v_lshlrev_b32_e32 v17, 3, v2
	global_load_dwordx2 v[19:20], v[9:10], off offset:184
	global_load_dwordx2 v[23:24], v17, s[14:15] offset:184
	ds_read2_b32 v[9:10], v1 offset0:48 offset1:104
	v_mul_u32_u24_sdwa v21, v6, s2 dst_sel:DWORD dst_unused:UNUSED_PAD src0_sel:WORD_0 src1_sel:DWORD
	v_lshrrev_b32_e32 v44, 21, v21
	v_mul_lo_u16_e32 v21, 48, v44
	ds_read2_b32 v[17:18], v3 offset0:128 offset1:184
	v_sub_u16_e32 v45, v6, v21
	v_lshlrev_b16_e32 v6, 3, v45
	s_waitcnt lgkmcnt(1)
	v_lshrrev_b32_e32 v25, 16, v10
	v_add_co_u32_e32 v21, vcc, s14, v6
	v_addc_co_u32_e32 v22, vcc, 0, v11, vcc
	v_cmp_lt_u16_e32 vcc, 47, v75
	global_load_dwordx2 v[21:22], v[21:22], off offset:184
	ds_read2_b32 v[29:30], v1 offset0:160 offset1:216
	ds_read2_b32 v[31:32], v62 offset1:56
	s_movk_i32 s2, 0x90
	s_waitcnt lgkmcnt(1)
	v_lshrrev_b32_e32 v35, 16, v29
	s_waitcnt lgkmcnt(0)
	v_lshrrev_b32_e32 v39, 16, v31
	s_waitcnt vmcnt(3)
	v_mul_f16_sdwa v6, v10, v15 dst_sel:DWORD dst_unused:UNUSED_PAD src0_sel:DWORD src1_sel:WORD_1
	v_fma_f16 v46, v25, v15, v6
	v_mul_f16_sdwa v6, v25, v15 dst_sel:DWORD dst_unused:UNUSED_PAD src0_sel:DWORD src1_sel:WORD_1
	v_fma_f16 v47, v10, v15, -v6
	ds_read2_b32 v[6:7], v7 offset0:96 offset1:152
	v_lshrrev_b32_e32 v10, 16, v18
	v_mul_f16_sdwa v11, v18, v16 dst_sel:DWORD dst_unused:UNUSED_PAD src0_sel:DWORD src1_sel:WORD_1
	v_fma_f16 v48, v10, v16, v11
	v_mul_f16_sdwa v10, v10, v16 dst_sel:DWORD dst_unused:UNUSED_PAD src0_sel:DWORD src1_sel:WORD_1
	v_fma_f16 v18, v18, v16, -v10
	v_add_f16_e32 v10, v47, v18
	s_waitcnt lgkmcnt(0)
	v_fma_f16 v10, v10, -0.5, v7
	v_sub_f16_e32 v11, v46, v48
	v_fma_f16 v37, v11, s0, v10
	v_fma_f16 v38, v11, s1, v10
	v_mul_lo_u16_sdwa v11, v0, s3 dst_sel:DWORD dst_unused:UNUSED_PAD src0_sel:BYTE_0 src1_sel:DWORD
	v_lshrrev_b16_e32 v49, 13, v11
	v_mul_lo_u16_e32 v11, 48, v49
	v_sub_u16_e32 v11, v0, v11
	v_and_b32_e32 v50, 0xff, v11
	v_mov_b32_e32 v10, 0x90
	v_lshlrev_b32_e32 v11, 3, v50
	global_load_dwordx2 v[25:26], v11, s[14:15] offset:184
	v_cndmask_b32_e32 v10, 0, v10, vcc
	v_add_lshl_u32 v130, v8, v10, 2
	v_mul_lo_u16_sdwa v8, v5, s3 dst_sel:DWORD dst_unused:UNUSED_PAD src0_sel:BYTE_0 src1_sel:DWORD
	v_lshrrev_b16_e32 v8, 13, v8
	v_mul_lo_u16_e32 v27, 48, v8
	v_sub_u16_e32 v5, v5, v27
	v_and_b32_e32 v5, 0xff, v5
	v_lshlrev_b32_e32 v27, 3, v5
	global_load_dwordx2 v[27:28], v27, s[14:15] offset:184
	ds_read2_b32 v[10:11], v4 offset0:80 offset1:136
	s_waitcnt vmcnt(4)
	v_mul_f16_sdwa v36, v29, v20 dst_sel:DWORD dst_unused:UNUSED_PAD src0_sel:DWORD src1_sel:WORD_1
	v_fma_f16 v36, v35, v20, v36
	v_mul_u32_u24_e32 v8, 0x90, v8
	v_add_lshl_u32 v133, v8, v5, 2
	s_waitcnt lgkmcnt(0)
	v_lshrrev_b32_e32 v33, 16, v10
	v_mul_f16_sdwa v34, v10, v19 dst_sel:DWORD dst_unused:UNUSED_PAD src0_sel:DWORD src1_sel:WORD_1
	v_fma_f16 v34, v33, v19, v34
	v_mul_f16_sdwa v33, v33, v19 dst_sel:DWORD dst_unused:UNUSED_PAD src0_sel:DWORD src1_sel:WORD_1
	v_fma_f16 v10, v10, v19, -v33
	v_mul_f16_sdwa v33, v35, v20 dst_sel:DWORD dst_unused:UNUSED_PAD src0_sel:DWORD src1_sel:WORD_1
	v_add_f16_e32 v40, v39, v34
	v_sub_f16_e32 v51, v34, v36
	v_add_f16_e32 v34, v34, v36
	v_fma_f16 v29, v29, v20, -v33
	v_fma_f16 v52, v34, -0.5, v39
	v_add_f16_e32 v33, v31, v10
	v_add_f16_e32 v34, v10, v29
	;; [unrolled: 1-line block ×4, first 2 shown]
	v_sub_f16_e32 v10, v10, v29
	v_fma_f16 v31, v34, -0.5, v31
	v_pack_b32_f16 v29, v33, v40
	v_fma_f16 v33, v51, s0, v31
	v_fma_f16 v34, v10, s1, v52
	v_pack_b32_f16 v53, v33, v34
	ds_read2_b32 v[33:34], v62 offset0:112 offset1:168
	ds_read2_b32 v[35:36], v4 offset0:192 offset1:248
	;; [unrolled: 1-line block ×3, first 2 shown]
	s_waitcnt lgkmcnt(0)
	; wave barrier
	s_waitcnt lgkmcnt(0)
	ds_write2_b32 v130, v29, v53 offset1:48
	v_lshrrev_b32_e32 v29, 16, v11
	s_waitcnt vmcnt(3)
	v_mul_f16_sdwa v53, v29, v23 dst_sel:DWORD dst_unused:UNUSED_PAD src0_sel:DWORD src1_sel:WORD_1
	v_fma_f16 v53, v11, v23, -v53
	v_mul_f16_sdwa v11, v11, v23 dst_sel:DWORD dst_unused:UNUSED_PAD src0_sel:DWORD src1_sel:WORD_1
	v_fma_f16 v11, v29, v23, v11
	v_lshrrev_b32_e32 v29, 16, v30
	v_mul_f16_sdwa v54, v29, v24 dst_sel:DWORD dst_unused:UNUSED_PAD src0_sel:DWORD src1_sel:WORD_1
	v_fma_f16 v54, v30, v24, -v54
	v_mul_f16_sdwa v30, v30, v24 dst_sel:DWORD dst_unused:UNUSED_PAD src0_sel:DWORD src1_sel:WORD_1
	v_fma_f16 v29, v29, v24, v30
	v_fma_f16 v30, v51, s1, v31
	;; [unrolled: 1-line block ×3, first 2 shown]
	v_add_f16_e32 v31, v53, v54
	v_lshrrev_b32_e32 v51, 16, v32
	v_fma_f16 v31, v31, -0.5, v32
	v_add_f16_e32 v32, v32, v53
	v_add_f16_e32 v52, v51, v11
	v_sub_f16_e32 v132, v11, v29
	v_add_f16_e32 v11, v11, v29
	v_pack_b32_f16 v10, v30, v10
	v_add_f16_e32 v52, v52, v29
	v_fma_f16 v11, v11, -0.5, v51
	v_add_f16_e32 v29, v32, v54
	v_sub_f16_e32 v32, v53, v54
	ds_write_b32 v130, v10 offset:384
	v_mul_u32_u24_e32 v10, 0x90, v43
	v_add_lshl_u32 v131, v10, v2, 2
	v_pack_b32_f16 v2, v29, v52
	v_fma_f16 v10, v132, s0, v31
	v_fma_f16 v29, v32, s1, v11
	v_pack_b32_f16 v10, v10, v29
	ds_write2_b32 v131, v2, v10 offset1:48
	v_fma_f16 v2, v132, s1, v31
	v_fma_f16 v10, v32, s0, v11
	v_lshrrev_b32_e32 v11, 16, v35
	v_lshrrev_b32_e32 v30, 16, v39
	;; [unrolled: 1-line block ×3, first 2 shown]
	v_pack_b32_f16 v2, v2, v10
	ds_write_b32 v131, v2 offset:384
	v_mul_u32_u24_e32 v2, 0x90, v49
	s_waitcnt vmcnt(1)
	v_mul_f16_sdwa v29, v35, v25 dst_sel:DWORD dst_unused:UNUSED_PAD src0_sel:DWORD src1_sel:WORD_1
	v_mul_f16_sdwa v31, v39, v26 dst_sel:DWORD dst_unused:UNUSED_PAD src0_sel:DWORD src1_sel:WORD_1
	v_fma_f16 v29, v11, v25, v29
	v_fma_f16 v31, v30, v26, v31
	v_mul_f16_sdwa v11, v11, v25 dst_sel:DWORD dst_unused:UNUSED_PAD src0_sel:DWORD src1_sel:WORD_1
	v_mul_f16_sdwa v30, v30, v26 dst_sel:DWORD dst_unused:UNUSED_PAD src0_sel:DWORD src1_sel:WORD_1
	v_add_f16_e32 v43, v32, v29
	v_sub_f16_e32 v51, v29, v31
	v_add_f16_e32 v29, v29, v31
	v_fma_f16 v11, v35, v25, -v11
	v_fma_f16 v30, v39, v26, -v30
	v_add_f16_e32 v43, v43, v31
	v_fma_f16 v29, v29, -0.5, v32
	v_add_f16_e32 v31, v33, v11
	v_add_f16_e32 v32, v11, v30
	;; [unrolled: 1-line block ×3, first 2 shown]
	v_sub_f16_e32 v11, v11, v30
	v_fma_f16 v10, v32, -0.5, v33
	v_add_lshl_u32 v132, v2, v50, 2
	v_pack_b32_f16 v2, v31, v43
	v_fma_f16 v30, v51, s0, v10
	v_fma_f16 v31, v11, s1, v29
	v_pack_b32_f16 v30, v30, v31
	ds_write2_b32 v132, v2, v30 offset1:48
	v_lshrrev_b32_e32 v2, 16, v36
	s_waitcnt vmcnt(0)
	v_mul_f16_sdwa v31, v36, v27 dst_sel:DWORD dst_unused:UNUSED_PAD src0_sel:DWORD src1_sel:WORD_1
	v_mul_f16_sdwa v30, v2, v27 dst_sel:DWORD dst_unused:UNUSED_PAD src0_sel:DWORD src1_sel:WORD_1
	v_fma_f16 v2, v2, v27, v31
	v_lshrrev_b32_e32 v31, 16, v40
	v_mul_f16_sdwa v32, v31, v28 dst_sel:DWORD dst_unused:UNUSED_PAD src0_sel:DWORD src1_sel:WORD_1
	v_mul_f16_sdwa v33, v40, v28 dst_sel:DWORD dst_unused:UNUSED_PAD src0_sel:DWORD src1_sel:WORD_1
	v_fma_f16 v30, v36, v27, -v30
	v_fma_f16 v32, v40, v28, -v32
	v_fma_f16 v31, v31, v28, v33
	v_lshrrev_b32_e32 v33, 16, v34
	v_fma_f16 v10, v51, s1, v10
	v_fma_f16 v11, v11, s0, v29
	v_add_f16_e32 v29, v30, v32
	v_add_f16_e32 v35, v33, v2
	v_sub_f16_e32 v36, v2, v31
	v_add_f16_e32 v2, v2, v31
	v_fma_f16 v29, v29, -0.5, v34
	v_add_f16_e32 v34, v34, v30
	v_fma_f16 v2, v2, -0.5, v33
	v_sub_f16_e32 v30, v30, v32
	v_pack_b32_f16 v10, v10, v11
	v_add_f16_e32 v35, v35, v31
	v_add_f16_e32 v31, v34, v32
	ds_write_b32 v132, v10 offset:384
	v_fma_f16 v8, v36, s0, v29
	v_fma_f16 v10, v30, s1, v2
	v_pack_b32_f16 v5, v31, v35
	v_pack_b32_f16 v8, v8, v10
	ds_write2_b32 v133, v5, v8 offset1:48
	v_lshrrev_b32_e32 v5, 16, v9
	v_mul_f16_sdwa v8, v5, v21 dst_sel:DWORD dst_unused:UNUSED_PAD src0_sel:DWORD src1_sel:WORD_1
	v_fma_f16 v8, v9, v21, -v8
	v_mul_f16_sdwa v9, v9, v21 dst_sel:DWORD dst_unused:UNUSED_PAD src0_sel:DWORD src1_sel:WORD_1
	v_fma_f16 v5, v5, v21, v9
	v_lshrrev_b32_e32 v9, 16, v17
	v_mul_f16_sdwa v10, v9, v22 dst_sel:DWORD dst_unused:UNUSED_PAD src0_sel:DWORD src1_sel:WORD_1
	v_mul_f16_sdwa v11, v17, v22 dst_sel:DWORD dst_unused:UNUSED_PAD src0_sel:DWORD src1_sel:WORD_1
	v_fma_f16 v10, v17, v22, -v10
	v_fma_f16 v9, v9, v22, v11
	v_fma_f16 v11, v36, s1, v29
	;; [unrolled: 1-line block ×3, first 2 shown]
	v_lshrrev_b32_e32 v17, 16, v6
	v_add_f16_e32 v29, v17, v5
	v_sub_f16_e32 v30, v5, v9
	v_add_f16_e32 v5, v5, v9
	v_pack_b32_f16 v2, v11, v2
	v_add_f16_e32 v29, v29, v9
	v_fma_f16 v5, v5, -0.5, v17
	v_add_f16_e32 v9, v6, v8
	v_add_f16_e32 v17, v8, v10
	v_sub_f16_e32 v8, v8, v10
	ds_write_b32 v133, v2 offset:384
	v_mad_legacy_u16 v2, v44, s2, v45
	v_fma_f16 v11, v8, s1, v5
	v_lshlrev_b32_e32 v136, 2, v2
	v_fma_f16 v139, v8, s0, v5
	v_lshrrev_b32_e32 v2, 16, v7
	v_add_f16_e32 v5, v7, v47
	v_fma_f16 v6, v17, -0.5, v6
	v_add_f16_e32 v34, v5, v18
	v_add_f16_e32 v5, v2, v46
	v_fma_f16 v33, v30, s1, v6
	v_add_f16_e32 v140, v5, v48
	v_add_f16_e32 v5, v46, v48
	;; [unrolled: 1-line block ×3, first 2 shown]
	v_fma_f16 v10, v30, s0, v6
	v_fma_f16 v2, v5, -0.5, v2
	v_sub_f16_e32 v5, v47, v18
	v_pack_b32_f16 v6, v33, v139
	ds_write_b32 v136, v6 offset:384
	v_mad_legacy_u16 v6, v41, s2, v42
	v_fma_f16 v141, v5, s1, v2
	v_fma_f16 v142, v5, s0, v2
	v_pack_b32_f16 v9, v9, v29
	v_pack_b32_f16 v10, v10, v11
	v_lshlrev_b32_e32 v137, 2, v6
	v_pack_b32_f16 v6, v34, v140
	v_pack_b32_f16 v7, v37, v141
	;; [unrolled: 1-line block ×3, first 2 shown]
	ds_write2_b32 v136, v9, v10 offset1:48
	ds_write2_b32 v137, v6, v7 offset1:48
	ds_write_b32 v137, v2 offset:384
	s_waitcnt lgkmcnt(0)
	; wave barrier
	s_waitcnt lgkmcnt(0)
	ds_read2_b32 v[47:48], v4 offset0:32 offset1:88
	ds_read2_b32 v[45:46], v4 offset0:176 offset1:232
	;; [unrolled: 1-line block ×3, first 2 shown]
	v_add_u32_e32 v1, 0xa00, v62
	ds_read2_b32 v[41:42], v3 offset0:96 offset1:152
	ds_read2_b32 v[39:40], v62 offset1:56
	ds_read2_b32 v[51:52], v62 offset0:144 offset1:200
	ds_read2_b32 v[49:50], v1 offset0:80 offset1:136
	s_load_dwordx2 s[2:3], s[4:5], 0x38
	v_mov_b32_e32 v6, s13
	v_add_co_u32_e32 v35, vcc, s12, v62
	v_addc_co_u32_e32 v36, vcc, 0, v6, vcc
	v_cmp_gt_u16_e32 vcc, 32, v75
                                        ; implicit-def: $vgpr54
	s_and_saveexec_b64 s[0:1], vcc
	s_cbranch_execz .LBB0_3
; %bb.2:
	v_add_u32_e32 v2, 0x100, v62
	ds_read2_b32 v[33:34], v2 offset0:48 offset1:192
	v_add_u32_e32 v2, 0x600, v62
	ds_read2_b32 v[37:38], v2 offset0:16 offset1:160
	ds_read2_b32 v[53:54], v1 offset0:48 offset1:192
	ds_read_b32 v143, v62 offset:3904
	s_waitcnt lgkmcnt(0)
	v_lshrrev_b32_e32 v139, 16, v33
	v_lshrrev_b32_e32 v140, 16, v34
	;; [unrolled: 1-line block ×7, first 2 shown]
.LBB0_3:
	s_or_b64 exec, exec, s[0:1]
	v_subrev_u32_e32 v3, 32, v75
	v_mad_u64_u32 v[1:2], s[0:1], v75, 24, s[14:15]
	v_cndmask_b32_e32 v0, v3, v0, vcc
	v_mul_hi_i32_i24_e32 v3, 24, v0
	v_mul_i32_i24_e32 v0, 24, v0
	v_mov_b32_e32 v18, s15
	v_add_co_u32_e64 v17, s[0:1], s14, v0
	v_addc_co_u32_e64 v18, s[0:1], v18, v3, s[0:1]
	global_load_dwordx4 v[4:7], v[1:2], off offset:568
	global_load_dwordx2 v[29:30], v[1:2], off offset:584
	global_load_dwordx4 v[8:11], v[1:2], off offset:1912
	global_load_dwordx2 v[31:32], v[1:2], off offset:1928
	s_nop 0
	global_load_dwordx4 v[0:3], v[17:18], off offset:568
	s_nop 0
	global_load_dwordx2 v[17:18], v[17:18], off offset:584
	v_lshlrev_b32_e32 v138, 2, v134
	v_lshlrev_b32_e32 v134, 2, v135
	s_waitcnt lgkmcnt(0)
	v_lshrrev_b32_e32 v135, 16, v51
	v_lshrrev_b32_e32 v147, 16, v47
	;; [unrolled: 1-line block ×10, first 2 shown]
	s_movk_i32 s0, 0x2b26
	s_movk_i32 s1, 0x3b00
	s_mov_b32 s4, 0xbcab
	s_movk_i32 s5, 0x39e0
	s_mov_b32 s6, 0xb9e0
	;; [unrolled: 2-line block ×3, first 2 shown]
	v_lshrrev_b32_e32 v154, 16, v46
	v_lshrrev_b32_e32 v155, 16, v44
	s_movk_i32 s15, 0x370e
	s_waitcnt vmcnt(5)
	v_mul_f16_sdwa v158, v135, v4 dst_sel:DWORD dst_unused:UNUSED_PAD src0_sel:DWORD src1_sel:WORD_1
	v_mul_f16_sdwa v159, v51, v4 dst_sel:DWORD dst_unused:UNUSED_PAD src0_sel:DWORD src1_sel:WORD_1
	v_fma_f16 v51, v51, v4, -v158
	s_waitcnt vmcnt(1)
	v_mul_f16_sdwa v158, v142, v2 dst_sel:DWORD dst_unused:UNUSED_PAD src0_sel:DWORD src1_sel:WORD_1
	v_fma_f16 v158, v38, v2, -v158
	v_mul_f16_sdwa v38, v38, v2 dst_sel:DWORD dst_unused:UNUSED_PAD src0_sel:DWORD src1_sel:WORD_1
	v_fma_f16 v38, v142, v2, v38
	v_mul_f16_sdwa v142, v146, v3 dst_sel:DWORD dst_unused:UNUSED_PAD src0_sel:DWORD src1_sel:WORD_1
	v_fma_f16 v142, v53, v3, -v142
	v_mul_f16_sdwa v53, v53, v3 dst_sel:DWORD dst_unused:UNUSED_PAD src0_sel:DWORD src1_sel:WORD_1
	v_fma_f16 v53, v146, v3, v53
	s_waitcnt vmcnt(0)
	v_mul_f16_sdwa v146, v144, v17 dst_sel:DWORD dst_unused:UNUSED_PAD src0_sel:DWORD src1_sel:WORD_1
	v_fma_f16 v146, v54, v17, -v146
	v_mul_f16_sdwa v54, v54, v17 dst_sel:DWORD dst_unused:UNUSED_PAD src0_sel:DWORD src1_sel:WORD_1
	v_mul_f16_sdwa v160, v147, v5 dst_sel:DWORD dst_unused:UNUSED_PAD src0_sel:DWORD src1_sel:WORD_1
	;; [unrolled: 1-line block ×7, first 2 shown]
	v_fma_f16 v54, v144, v17, v54
	v_mul_f16_sdwa v144, v145, v18 dst_sel:DWORD dst_unused:UNUSED_PAD src0_sel:DWORD src1_sel:WORD_1
	v_mul_f16_sdwa v162, v148, v6 dst_sel:DWORD dst_unused:UNUSED_PAD src0_sel:DWORD src1_sel:WORD_1
	;; [unrolled: 1-line block ×5, first 2 shown]
	v_fma_f16 v135, v135, v4, v159
	v_fma_f16 v47, v47, v5, -v160
	v_fma_f16 v147, v147, v5, v161
	v_fma_f16 v49, v49, v29, -v166
	;; [unrolled: 2-line block ×4, first 2 shown]
	v_mul_f16_sdwa v143, v143, v18 dst_sel:DWORD dst_unused:UNUSED_PAD src0_sel:DWORD src1_sel:WORD_1
	v_fma_f16 v45, v45, v6, -v162
	v_fma_f16 v148, v148, v6, v163
	v_fma_f16 v43, v43, v7, -v164
	v_fma_f16 v149, v149, v7, v165
	v_fma_f16 v143, v145, v18, v143
	v_add_f16_e32 v145, v51, v41
	v_add_f16_e32 v159, v135, v151
	v_sub_f16_e32 v41, v51, v41
	v_sub_f16_e32 v51, v135, v151
	v_add_f16_e32 v135, v47, v49
	v_add_f16_e32 v151, v147, v150
	v_sub_f16_e32 v47, v47, v49
	v_sub_f16_e32 v49, v147, v150
	v_add_f16_e32 v147, v45, v43
	v_add_f16_e32 v150, v148, v149
	v_sub_f16_e32 v43, v43, v45
	v_sub_f16_e32 v45, v149, v148
	v_add_f16_e32 v148, v135, v145
	v_add_f16_e32 v149, v151, v159
	v_sub_f16_e32 v160, v135, v145
	v_sub_f16_e32 v161, v151, v159
	v_sub_f16_e32 v145, v145, v147
	v_sub_f16_e32 v159, v159, v150
	;; [unrolled: 1-line block ×4, first 2 shown]
	v_add_f16_e32 v162, v43, v47
	v_add_f16_e32 v163, v45, v49
	v_sub_f16_e32 v164, v43, v47
	v_sub_f16_e32 v165, v45, v49
	;; [unrolled: 1-line block ×4, first 2 shown]
	v_add_f16_e32 v147, v147, v148
	v_add_f16_e32 v148, v150, v149
	v_sub_f16_e32 v43, v41, v43
	v_sub_f16_e32 v45, v51, v45
	v_add_f16_e32 v41, v162, v41
	v_add_f16_e32 v51, v163, v51
	;; [unrolled: 1-line block ×3, first 2 shown]
	v_add_f16_sdwa v150, v39, v148 dst_sel:DWORD dst_unused:UNUSED_PAD src0_sel:WORD_1 src1_sel:DWORD
	v_mul_f16_e32 v39, 0x3a52, v145
	v_mul_f16_e32 v145, 0x3a52, v159
	v_mul_f16_e32 v159, 0x2b26, v135
	v_mul_f16_e32 v162, 0x2b26, v151
	v_mul_f16_e32 v163, 0xb846, v164
	v_mul_f16_e32 v164, 0xb846, v165
	v_mul_f16_e32 v165, 0x3b00, v47
	v_mul_f16_e32 v166, 0x3b00, v49
	v_mul_f16_sdwa v170, v152, v8 dst_sel:DWORD dst_unused:UNUSED_PAD src0_sel:DWORD src1_sel:WORD_1
	v_mul_f16_sdwa v171, v52, v8 dst_sel:DWORD dst_unused:UNUSED_PAD src0_sel:DWORD src1_sel:WORD_1
	v_mul_f16_sdwa v172, v153, v9 dst_sel:DWORD dst_unused:UNUSED_PAD src0_sel:DWORD src1_sel:WORD_1
	v_mul_f16_sdwa v173, v48, v9 dst_sel:DWORD dst_unused:UNUSED_PAD src0_sel:DWORD src1_sel:WORD_1
	v_mul_f16_sdwa v178, v156, v31 dst_sel:DWORD dst_unused:UNUSED_PAD src0_sel:DWORD src1_sel:WORD_1
	v_mul_f16_sdwa v179, v50, v31 dst_sel:DWORD dst_unused:UNUSED_PAD src0_sel:DWORD src1_sel:WORD_1
	v_mul_f16_sdwa v180, v157, v32 dst_sel:DWORD dst_unused:UNUSED_PAD src0_sel:DWORD src1_sel:WORD_1
	v_mul_f16_sdwa v181, v42, v32 dst_sel:DWORD dst_unused:UNUSED_PAD src0_sel:DWORD src1_sel:WORD_1
	v_fma_f16 v147, v147, s4, v149
	v_fma_f16 v148, v148, s4, v150
	;; [unrolled: 1-line block ×4, first 2 shown]
	v_fma_f16 v159, v160, s5, -v159
	v_fma_f16 v162, v161, s5, -v162
	;; [unrolled: 1-line block ×4, first 2 shown]
	v_fma_f16 v160, v43, s7, v163
	v_fma_f16 v161, v45, s7, v164
	v_fma_f16 v47, v47, s1, -v163
	v_fma_f16 v43, v43, s14, -v165
	;; [unrolled: 1-line block ×3, first 2 shown]
	v_mul_f16_sdwa v174, v154, v10 dst_sel:DWORD dst_unused:UNUSED_PAD src0_sel:DWORD src1_sel:WORD_1
	v_mul_f16_sdwa v175, v46, v10 dst_sel:DWORD dst_unused:UNUSED_PAD src0_sel:DWORD src1_sel:WORD_1
	;; [unrolled: 1-line block ×4, first 2 shown]
	v_fma_f16 v52, v52, v8, -v170
	v_fma_f16 v152, v152, v8, v171
	v_fma_f16 v48, v48, v9, -v172
	v_fma_f16 v153, v153, v9, v173
	;; [unrolled: 2-line block ×4, first 2 shown]
	v_fma_f16 v49, v49, s1, -v164
	v_add_f16_e32 v135, v135, v147
	v_add_f16_e32 v159, v159, v147
	;; [unrolled: 1-line block ×5, first 2 shown]
	v_fma_f16 v147, v41, s15, v160
	v_fma_f16 v47, v41, s15, v47
	;; [unrolled: 1-line block ×4, first 2 shown]
	v_fma_f16 v46, v46, v10, -v174
	v_fma_f16 v154, v154, v10, v175
	v_fma_f16 v44, v44, v11, -v176
	v_fma_f16 v155, v155, v11, v177
	v_add_f16_e32 v151, v151, v148
	v_fma_f16 v148, v51, s15, v161
	v_fma_f16 v49, v51, s15, v49
	v_add_f16_e32 v163, v43, v39
	v_sub_f16_e32 v164, v145, v41
	v_add_f16_e32 v166, v47, v162
	v_sub_f16_e32 v162, v162, v47
	v_sub_f16_e32 v167, v39, v43
	v_add_f16_e32 v145, v41, v145
	v_add_f16_e32 v39, v52, v42
	;; [unrolled: 1-line block ×6, first 2 shown]
	v_sub_f16_e32 v165, v159, v49
	v_add_f16_e32 v159, v49, v159
	v_sub_f16_e32 v135, v135, v148
	v_sub_f16_e32 v42, v52, v42
	;; [unrolled: 1-line block ×5, first 2 shown]
	v_add_f16_e32 v50, v46, v44
	v_add_f16_e32 v51, v154, v155
	v_sub_f16_e32 v44, v44, v46
	v_sub_f16_e32 v46, v155, v154
	v_add_f16_e32 v52, v45, v39
	v_add_f16_e32 v148, v47, v41
	v_sub_f16_e32 v161, v151, v147
	v_add_f16_e32 v147, v147, v151
	v_sub_f16_e32 v151, v45, v39
	v_sub_f16_e32 v152, v47, v41
	;; [unrolled: 1-line block ×6, first 2 shown]
	v_add_f16_e32 v153, v44, v48
	v_add_f16_e32 v154, v46, v49
	v_sub_f16_e32 v155, v44, v48
	v_sub_f16_e32 v156, v46, v49
	;; [unrolled: 1-line block ×4, first 2 shown]
	v_add_f16_e32 v50, v50, v52
	v_add_f16_e32 v51, v51, v148
	v_sub_f16_e32 v44, v42, v44
	v_sub_f16_e32 v46, v43, v46
	v_add_f16_e32 v42, v153, v42
	v_add_f16_e32 v43, v154, v43
	;; [unrolled: 1-line block ×3, first 2 shown]
	v_add_f16_sdwa v153, v40, v51 dst_sel:DWORD dst_unused:UNUSED_PAD src0_sel:WORD_1 src1_sel:DWORD
	v_mul_f16_e32 v39, 0x3a52, v39
	v_mul_f16_e32 v40, 0x3a52, v41
	;; [unrolled: 1-line block ×8, first 2 shown]
	v_mul_f16_sdwa v182, v140, v0 dst_sel:DWORD dst_unused:UNUSED_PAD src0_sel:DWORD src1_sel:WORD_1
	v_mul_f16_sdwa v183, v34, v0 dst_sel:DWORD dst_unused:UNUSED_PAD src0_sel:DWORD src1_sel:WORD_1
	;; [unrolled: 1-line block ×4, first 2 shown]
	v_fma_f16 v50, v50, s4, v148
	v_fma_f16 v51, v51, s4, v153
	;; [unrolled: 1-line block ×4, first 2 shown]
	v_fma_f16 v41, v151, s5, -v41
	v_fma_f16 v52, v152, s5, -v52
	;; [unrolled: 1-line block ×4, first 2 shown]
	v_fma_f16 v151, v44, s7, v154
	v_fma_f16 v152, v46, s7, v155
	v_fma_f16 v48, v48, s1, -v154
	v_fma_f16 v49, v49, s1, -v155
	;; [unrolled: 1-line block ×5, first 2 shown]
	v_fma_f16 v140, v140, v0, v183
	v_fma_f16 v37, v37, v1, -v184
	v_fma_f16 v141, v141, v1, v185
	v_add_f16_e32 v45, v45, v50
	v_add_f16_e32 v47, v47, v51
	;; [unrolled: 1-line block ×6, first 2 shown]
	v_fma_f16 v50, v42, s15, v151
	v_fma_f16 v51, v43, s15, v152
	;; [unrolled: 1-line block ×6, first 2 shown]
	v_add_f16_e32 v154, v43, v39
	v_sub_f16_e32 v155, v40, v42
	v_sub_f16_e32 v170, v39, v43
	v_add_f16_e32 v171, v42, v40
	v_add_f16_e32 v39, v34, v144
	;; [unrolled: 1-line block ×6, first 2 shown]
	v_sub_f16_e32 v156, v41, v49
	v_add_f16_e32 v157, v48, v52
	v_add_f16_e32 v168, v49, v41
	v_sub_f16_e32 v169, v52, v48
	v_sub_f16_e32 v172, v45, v51
	v_add_f16_e32 v45, v158, v142
	v_add_f16_e32 v46, v38, v53
	;; [unrolled: 1-line block ×4, first 2 shown]
	v_sub_f16_e32 v152, v47, v50
	v_add_f16_e32 v173, v50, v47
	v_sub_f16_e32 v34, v34, v144
	v_sub_f16_e32 v41, v140, v143
	;; [unrolled: 1-line block ×12, first 2 shown]
	v_add_f16_e32 v45, v45, v48
	v_add_f16_e32 v46, v46, v49
	;; [unrolled: 1-line block ×4, first 2 shown]
	v_sub_f16_e32 v54, v47, v37
	v_sub_f16_e32 v140, v38, v44
	;; [unrolled: 1-line block ×4, first 2 shown]
	v_add_f16_e32 v37, v33, v45
	v_add_f16_e32 v38, v139, v46
	v_mul_f16_e32 v33, 0x3a52, v39
	v_mul_f16_e32 v39, 0x3a52, v40
	;; [unrolled: 1-line block ×3, first 2 shown]
	v_sub_f16_e32 v47, v34, v47
	v_sub_f16_e32 v44, v44, v41
	v_add_f16_e32 v34, v52, v34
	v_mul_f16_e32 v40, 0x2b26, v42
	v_mul_f16_e32 v49, 0xb846, v54
	;; [unrolled: 1-line block ×3, first 2 shown]
	v_fma_f16 v139, v45, s4, v37
	v_fma_f16 v140, v46, s4, v38
	;; [unrolled: 1-line block ×3, first 2 shown]
	v_fma_f16 v46, v51, s5, -v48
	v_fma_f16 v39, v51, s6, -v39
	v_add_f16_e32 v41, v53, v41
	v_mul_f16_e32 v53, 0x3b00, v142
	v_mul_f16_e32 v54, 0x3b00, v44
	v_fma_f16 v42, v42, s0, v33
	v_fma_f16 v40, v50, s5, -v40
	v_fma_f16 v33, v50, s6, -v33
	v_fma_f16 v48, v47, s7, v49
	v_fma_f16 v51, v141, s7, v52
	v_fma_f16 v142, v142, s1, -v49
	v_fma_f16 v52, v44, s1, -v52
	v_add_f16_e32 v44, v45, v140
	v_add_f16_e32 v49, v46, v140
	;; [unrolled: 1-line block ×3, first 2 shown]
	v_pack_b32_f16 v140, v160, v161
	ds_write_b32 v62, v140 offset:576
	v_pack_b32_f16 v140, v163, v164
	ds_write_b32 v62, v140 offset:1152
	;; [unrolled: 2-line block ×3, first 2 shown]
	v_pack_b32_f16 v140, v159, v162
	v_pack_b32_f16 v135, v135, v147
	v_add_f16_e32 v43, v42, v139
	v_add_f16_e32 v45, v40, v139
	;; [unrolled: 1-line block ×3, first 2 shown]
	v_pack_b32_f16 v139, v149, v150
	ds_write_b32 v62, v140 offset:2304
	v_pack_b32_f16 v140, v167, v145
	ds_write_b32 v62, v135 offset:3456
	v_pack_b32_f16 v135, v148, v153
	ds_write_b32 v62, v140 offset:2880
	ds_write2_b32 v62, v139, v135 offset1:56
	v_pack_b32_f16 v135, v151, v152
	ds_write_b32 v62, v135 offset:800
	v_pack_b32_f16 v135, v154, v155
	ds_write_b32 v62, v135 offset:1376
	v_pack_b32_f16 v135, v156, v157
	v_fma_f16 v53, v47, s14, -v53
	v_fma_f16 v54, v141, s14, -v54
	ds_write_b32 v62, v135 offset:1952
	v_pack_b32_f16 v135, v168, v169
	v_fma_f16 v47, v34, s15, v48
	v_fma_f16 v48, v41, s15, v51
	v_fma_f16 v51, v34, s15, v142
	v_fma_f16 v52, v41, s15, v52
	v_fma_f16 v53, v34, s15, v53
	v_fma_f16 v54, v41, s15, v54
	ds_write_b32 v62, v135 offset:2528
	v_pack_b32_f16 v135, v170, v171
	v_add_f16_e32 v33, v52, v45
	v_sub_f16_e32 v40, v49, v51
	v_sub_f16_e32 v34, v46, v54
	v_add_f16_e32 v39, v53, v50
	v_sub_f16_e32 v41, v43, v48
	v_add_f16_e32 v42, v47, v44
	ds_write_b32 v62, v135 offset:3104
	v_pack_b32_f16 v135, v172, v173
	ds_write_b32 v62, v135 offset:3680
	s_and_saveexec_b64 s[0:1], vcc
	s_cbranch_execz .LBB0_5
; %bb.4:
	v_sub_f16_e32 v44, v44, v47
	v_add_f16_e32 v43, v48, v43
	s_mov_b32 s4, 0x5040100
	v_add_f16_e32 v49, v51, v49
	v_sub_f16_e32 v45, v45, v52
	v_sub_f16_e32 v50, v50, v53
	v_add_f16_e32 v46, v54, v46
	v_perm_b32 v37, v38, v37, s4
	v_pack_b32_f16 v38, v43, v44
	v_add_u32_e32 v43, 0x100, v62
	ds_write2_b32 v43, v37, v38 offset0:48 offset1:192
	v_pack_b32_f16 v37, v46, v50
	v_pack_b32_f16 v38, v45, v49
	v_add_u32_e32 v43, 0x600, v62
	ds_write2_b32 v43, v37, v38 offset0:16 offset1:160
	v_perm_b32 v37, v40, v33, s4
	v_perm_b32 v38, v39, v34, s4
	v_add_u32_e32 v43, 0xa00, v62
	ds_write2_b32 v43, v37, v38 offset0:48 offset1:192
	v_perm_b32 v37, v42, v41, s4
	ds_write_b32 v62, v37 offset:3904
.LBB0_5:
	s_or_b64 exec, exec, s[0:1]
	s_waitcnt lgkmcnt(0)
	; wave barrier
	s_waitcnt lgkmcnt(0)
	global_load_dword v38, v[35:36], off offset:4032
	s_add_u32 s0, s12, 0xfc0
	s_addc_u32 s1, s13, 0
	v_lshlrev_b32_e32 v46, 2, v75
	global_load_dword v47, v46, s[0:1] offset:224
	global_load_dword v54, v46, s[0:1] offset:2016
	;; [unrolled: 1-line block ×10, first 2 shown]
	ds_read2_b32 v[36:37], v62 offset1:56
	global_load_dword v146, v46, s[0:1] offset:3136
	global_load_dword v147, v46, s[0:1] offset:3360
	;; [unrolled: 1-line block ×7, first 2 shown]
	v_add_u32_e32 v45, 0x400, v62
	v_add_u32_e32 v44, 0x800, v62
	;; [unrolled: 1-line block ×3, first 2 shown]
	s_waitcnt lgkmcnt(0)
	v_lshrrev_b32_e32 v46, 16, v36
	v_lshrrev_b32_e32 v48, 16, v37
	v_add_u32_e32 v43, 0x600, v62
	s_mov_b32 s0, 0xbaee
	s_movk_i32 s1, 0x3aee
	s_waitcnt vmcnt(17)
	v_mul_f16_sdwa v49, v46, v38 dst_sel:DWORD dst_unused:UNUSED_PAD src0_sel:DWORD src1_sel:WORD_1
	v_mul_f16_sdwa v50, v36, v38 dst_sel:DWORD dst_unused:UNUSED_PAD src0_sel:DWORD src1_sel:WORD_1
	v_fma_f16 v36, v36, v38, -v49
	v_fma_f16 v38, v46, v38, v50
	v_pack_b32_f16 v36, v36, v38
	s_waitcnt vmcnt(16)
	v_mul_f16_sdwa v38, v48, v47 dst_sel:DWORD dst_unused:UNUSED_PAD src0_sel:DWORD src1_sel:WORD_1
	v_mul_f16_sdwa v46, v37, v47 dst_sel:DWORD dst_unused:UNUSED_PAD src0_sel:DWORD src1_sel:WORD_1
	ds_write_b32 v62, v36
	v_fma_f16 v38, v37, v47, -v38
	v_fma_f16 v46, v48, v47, v46
	ds_read2_b32 v[36:37], v45 offset0:192 offset1:248
	v_pack_b32_f16 v38, v38, v46
	ds_read2_b32 v[46:47], v44 offset0:48 offset1:104
	ds_read2_b32 v[48:49], v62 offset0:112 offset1:168
	;; [unrolled: 1-line block ×4, first 2 shown]
	s_waitcnt lgkmcnt(3)
	v_lshrrev_b32_e32 v155, 16, v46
	v_lshrrev_b32_e32 v153, 16, v37
	s_waitcnt vmcnt(15)
	v_mul_f16_sdwa v154, v37, v54 dst_sel:DWORD dst_unused:UNUSED_PAD src0_sel:DWORD src1_sel:WORD_1
	s_waitcnt vmcnt(14)
	v_mul_f16_sdwa v156, v46, v135 dst_sel:DWORD dst_unused:UNUSED_PAD src0_sel:DWORD src1_sel:WORD_1
	s_waitcnt lgkmcnt(2)
	v_lshrrev_b32_e32 v157, 16, v48
	s_waitcnt vmcnt(13)
	v_mul_f16_sdwa v158, v48, v139 dst_sel:DWORD dst_unused:UNUSED_PAD src0_sel:DWORD src1_sel:WORD_1
	v_lshrrev_b32_e32 v159, 16, v47
	s_waitcnt vmcnt(12)
	v_mul_f16_sdwa v160, v47, v140 dst_sel:DWORD dst_unused:UNUSED_PAD src0_sel:DWORD src1_sel:WORD_1
	;; [unrolled: 3-line block ×3, first 2 shown]
	s_waitcnt lgkmcnt(1)
	v_lshrrev_b32_e32 v163, 16, v50
	s_waitcnt vmcnt(10)
	v_mul_f16_sdwa v164, v50, v142 dst_sel:DWORD dst_unused:UNUSED_PAD src0_sel:DWORD src1_sel:WORD_1
	s_waitcnt lgkmcnt(0)
	v_lshrrev_b32_e32 v165, 16, v52
	v_mul_f16_sdwa v168, v153, v54 dst_sel:DWORD dst_unused:UNUSED_PAD src0_sel:DWORD src1_sel:WORD_1
	v_fma_f16 v153, v153, v54, v154
	v_mul_f16_sdwa v154, v155, v135 dst_sel:DWORD dst_unused:UNUSED_PAD src0_sel:DWORD src1_sel:WORD_1
	s_waitcnt vmcnt(9)
	v_mul_f16_sdwa v166, v52, v143 dst_sel:DWORD dst_unused:UNUSED_PAD src0_sel:DWORD src1_sel:WORD_1
	v_fma_f16 v155, v155, v135, v156
	v_mul_f16_sdwa v156, v157, v139 dst_sel:DWORD dst_unused:UNUSED_PAD src0_sel:DWORD src1_sel:WORD_1
	v_fma_f16 v157, v157, v139, v158
	;; [unrolled: 2-line block ×5, first 2 shown]
	v_mul_f16_sdwa v164, v165, v143 dst_sel:DWORD dst_unused:UNUSED_PAD src0_sel:DWORD src1_sel:WORD_1
	v_fma_f16 v37, v37, v54, -v168
	v_fma_f16 v46, v46, v135, -v154
	v_lshrrev_b32_e32 v167, 16, v51
	v_fma_f16 v165, v165, v143, v166
	v_fma_f16 v48, v48, v139, -v156
	v_fma_f16 v47, v47, v140, -v158
	;; [unrolled: 1-line block ×5, first 2 shown]
	v_pack_b32_f16 v37, v37, v153
	v_pack_b32_f16 v46, v46, v155
	s_waitcnt vmcnt(8)
	v_mul_f16_sdwa v166, v167, v144 dst_sel:DWORD dst_unused:UNUSED_PAD src0_sel:DWORD src1_sel:WORD_1
	v_pack_b32_f16 v48, v48, v157
	v_pack_b32_f16 v47, v47, v159
	;; [unrolled: 1-line block ×5, first 2 shown]
	ds_write2_b32 v43, v37, v46 offset0:120 offset1:176
	ds_write2_b32 v62, v38, v48 offset0:56 offset1:112
	;; [unrolled: 1-line block ×4, first 2 shown]
	v_mul_f16_sdwa v38, v51, v144 dst_sel:DWORD dst_unused:UNUSED_PAD src0_sel:DWORD src1_sel:WORD_1
	v_fma_f16 v37, v51, v144, -v166
	v_fma_f16 v38, v167, v144, v38
	v_add_u32_e32 v47, 0xc00, v62
	v_pack_b32_f16 v50, v37, v38
	ds_read2_b32 v[37:38], v47 offset0:16 offset1:72
	v_lshrrev_b32_e32 v46, 16, v53
	s_waitcnt vmcnt(7)
	v_mul_f16_sdwa v48, v46, v145 dst_sel:DWORD dst_unused:UNUSED_PAD src0_sel:DWORD src1_sel:WORD_1
	v_mul_f16_sdwa v49, v53, v145 dst_sel:DWORD dst_unused:UNUSED_PAD src0_sel:DWORD src1_sel:WORD_1
	v_fma_f16 v48, v53, v145, -v48
	v_fma_f16 v46, v46, v145, v49
	v_pack_b32_f16 v51, v48, v46
	s_waitcnt lgkmcnt(0)
	v_lshrrev_b32_e32 v46, 16, v37
	s_waitcnt vmcnt(6)
	v_mul_f16_sdwa v48, v46, v146 dst_sel:DWORD dst_unused:UNUSED_PAD src0_sel:DWORD src1_sel:WORD_1
	v_fma_f16 v52, v37, v146, -v48
	ds_read2_b32 v[48:49], v45 offset0:80 offset1:136
	v_mul_f16_sdwa v37, v37, v146 dst_sel:DWORD dst_unused:UNUSED_PAD src0_sel:DWORD src1_sel:WORD_1
	v_fma_f16 v37, v46, v146, v37
	v_pack_b32_f16 v37, v52, v37
	v_add_u32_e32 v46, 0xa00, v62
	ds_write2_b32 v46, v50, v37 offset0:88 offset1:144
	s_waitcnt lgkmcnt(1)
	v_lshrrev_b32_e32 v37, 16, v48
	s_waitcnt vmcnt(4)
	v_mul_f16_sdwa v50, v37, v148 dst_sel:DWORD dst_unused:UNUSED_PAD src0_sel:DWORD src1_sel:WORD_1
	v_fma_f16 v50, v48, v148, -v50
	v_mul_f16_sdwa v48, v48, v148 dst_sel:DWORD dst_unused:UNUSED_PAD src0_sel:DWORD src1_sel:WORD_1
	v_fma_f16 v37, v37, v148, v48
	v_pack_b32_f16 v37, v50, v37
	ds_write2_b32 v45, v51, v37 offset0:24 offset1:80
	v_lshrrev_b32_e32 v37, 16, v38
	v_mul_f16_sdwa v48, v37, v147 dst_sel:DWORD dst_unused:UNUSED_PAD src0_sel:DWORD src1_sel:WORD_1
	v_fma_f16 v48, v38, v147, -v48
	v_mul_f16_sdwa v38, v38, v147 dst_sel:DWORD dst_unused:UNUSED_PAD src0_sel:DWORD src1_sel:WORD_1
	v_fma_f16 v37, v37, v147, v38
	v_pack_b32_f16 v48, v48, v37
	ds_read2_b32 v[37:38], v47 offset0:128 offset1:184
	v_lshrrev_b32_e32 v50, 16, v49
	s_waitcnt vmcnt(3)
	v_mul_f16_sdwa v51, v50, v149 dst_sel:DWORD dst_unused:UNUSED_PAD src0_sel:DWORD src1_sel:WORD_1
	v_fma_f16 v51, v49, v149, -v51
	v_mul_f16_sdwa v49, v49, v149 dst_sel:DWORD dst_unused:UNUSED_PAD src0_sel:DWORD src1_sel:WORD_1
	v_fma_f16 v49, v50, v149, v49
	s_waitcnt lgkmcnt(0)
	v_lshrrev_b32_e32 v50, 16, v37
	v_pack_b32_f16 v49, v51, v49
	s_waitcnt vmcnt(1)
	v_mul_f16_sdwa v51, v50, v151 dst_sel:DWORD dst_unused:UNUSED_PAD src0_sel:DWORD src1_sel:WORD_1
	v_fma_f16 v51, v37, v151, -v51
	v_mul_f16_sdwa v37, v37, v151 dst_sel:DWORD dst_unused:UNUSED_PAD src0_sel:DWORD src1_sel:WORD_1
	v_fma_f16 v37, v50, v151, v37
	v_pack_b32_f16 v37, v51, v37
	ds_write2_b32 v47, v48, v37 offset0:72 offset1:128
	v_lshrrev_b32_e32 v37, 16, v36
	v_mul_f16_sdwa v48, v37, v150 dst_sel:DWORD dst_unused:UNUSED_PAD src0_sel:DWORD src1_sel:WORD_1
	v_fma_f16 v48, v36, v150, -v48
	v_mul_f16_sdwa v36, v36, v150 dst_sel:DWORD dst_unused:UNUSED_PAD src0_sel:DWORD src1_sel:WORD_1
	v_fma_f16 v36, v37, v150, v36
	v_pack_b32_f16 v36, v48, v36
	ds_write2_b32 v45, v49, v36 offset0:136 offset1:192
	v_lshrrev_b32_e32 v36, 16, v38
	s_waitcnt vmcnt(0)
	v_mul_f16_sdwa v37, v36, v152 dst_sel:DWORD dst_unused:UNUSED_PAD src0_sel:DWORD src1_sel:WORD_1
	v_fma_f16 v37, v38, v152, -v37
	v_mul_f16_sdwa v38, v38, v152 dst_sel:DWORD dst_unused:UNUSED_PAD src0_sel:DWORD src1_sel:WORD_1
	v_fma_f16 v36, v36, v152, v38
	v_pack_b32_f16 v36, v37, v36
	ds_write_b32 v62, v36 offset:3808
	s_waitcnt lgkmcnt(0)
	; wave barrier
	s_waitcnt lgkmcnt(0)
	ds_read2_b32 v[36:37], v62 offset1:56
	ds_read2_b32 v[48:49], v45 offset0:192 offset1:248
	ds_read2_b32 v[50:51], v44 offset0:48 offset1:104
	;; [unrolled: 1-line block ×5, first 2 shown]
	s_waitcnt lgkmcnt(4)
	v_pk_add_f16 v53, v36, v49 neg_lo:[0,1] neg_hi:[0,1]
	s_waitcnt lgkmcnt(3)
	v_pk_add_f16 v38, v37, v50 neg_lo:[0,1] neg_hi:[0,1]
	ds_read2_b32 v[49:50], v44 offset0:160 offset1:216
	s_waitcnt lgkmcnt(3)
	v_pk_add_f16 v142, v139, v51 neg_lo:[0,1] neg_hi:[0,1]
	v_pk_fma_f16 v141, v139, 2.0, v142 op_sel_hi:[1,0,1] neg_lo:[0,0,1] neg_hi:[0,0,1]
	ds_read2_b32 v[149:150], v47 offset0:128 offset1:184
	v_pk_fma_f16 v52, v36, 2.0, v53 op_sel_hi:[1,0,1] neg_lo:[0,0,1] neg_hi:[0,0,1]
	s_waitcnt lgkmcnt(1)
	v_pk_add_f16 v146, v140, v49 neg_lo:[0,1] neg_hi:[0,1]
	v_pk_fma_f16 v145, v140, 2.0, v146 op_sel_hi:[1,0,1] neg_lo:[0,0,1] neg_hi:[0,0,1]
	ds_read2_b32 v[139:140], v47 offset0:16 offset1:72
	v_pk_add_f16 v50, v143, v50 neg_lo:[0,1] neg_hi:[0,1]
	v_pk_fma_f16 v37, v37, 2.0, v38 op_sel_hi:[1,0,1] neg_lo:[0,0,1] neg_hi:[0,0,1]
	v_pk_fma_f16 v49, v143, 2.0, v50 op_sel_hi:[1,0,1] neg_lo:[0,0,1] neg_hi:[0,0,1]
	s_waitcnt lgkmcnt(0)
	v_pk_add_f16 v152, v144, v139 neg_lo:[0,1] neg_hi:[0,1]
	v_pk_fma_f16 v151, v144, 2.0, v152 op_sel_hi:[1,0,1] neg_lo:[0,0,1] neg_hi:[0,0,1]
	v_pk_add_f16 v144, v148, v149 neg_lo:[0,1] neg_hi:[0,1]
	v_pk_add_f16 v140, v147, v140 neg_lo:[0,1] neg_hi:[0,1]
	v_pk_fma_f16 v143, v148, 2.0, v144 op_sel_hi:[1,0,1] neg_lo:[0,0,1] neg_hi:[0,0,1]
	v_pk_add_f16 v148, v48, v150 neg_lo:[0,1] neg_hi:[0,1]
	v_pk_fma_f16 v139, v147, 2.0, v140 op_sel_hi:[1,0,1] neg_lo:[0,0,1] neg_hi:[0,0,1]
	v_pk_fma_f16 v147, v48, 2.0, v148 op_sel_hi:[1,0,1] neg_lo:[0,0,1] neg_hi:[0,0,1]
	; wave barrier
	ds_write_b64 v77, v[52:53]
	ds_write_b64 v78, v[37:38]
	;; [unrolled: 1-line block ×9, first 2 shown]
	s_waitcnt lgkmcnt(0)
	; wave barrier
	s_waitcnt lgkmcnt(0)
	ds_read2_b32 v[36:37], v62 offset1:56
	ds_read2_b32 v[48:49], v45 offset0:192 offset1:248
	ds_read2_b32 v[50:51], v44 offset0:48 offset1:104
	;; [unrolled: 1-line block ×7, first 2 shown]
	s_waitcnt lgkmcnt(6)
	v_lshrrev_b32_e32 v54, 16, v49
	v_mul_f16_sdwa v155, v81, v54 dst_sel:DWORD dst_unused:UNUSED_PAD src0_sel:WORD_1 src1_sel:DWORD
	s_waitcnt lgkmcnt(5)
	v_lshrrev_b32_e32 v140, 16, v50
	v_fma_f16 v155, v81, v49, v155
	v_mul_f16_sdwa v49, v81, v49 dst_sel:DWORD dst_unused:UNUSED_PAD src0_sel:WORD_1 src1_sel:DWORD
	v_fma_f16 v49, v81, v54, -v49
	v_mul_f16_sdwa v54, v81, v140 dst_sel:DWORD dst_unused:UNUSED_PAD src0_sel:WORD_1 src1_sel:DWORD
	v_lshrrev_b32_e32 v142, 16, v51
	v_fma_f16 v54, v81, v50, v54
	v_mul_f16_sdwa v50, v81, v50 dst_sel:DWORD dst_unused:UNUSED_PAD src0_sel:WORD_1 src1_sel:DWORD
	v_fma_f16 v50, v81, v140, -v50
	v_mul_f16_sdwa v140, v81, v142 dst_sel:DWORD dst_unused:UNUSED_PAD src0_sel:WORD_1 src1_sel:DWORD
	s_waitcnt lgkmcnt(3)
	v_lshrrev_b32_e32 v144, 16, v77
	v_fma_f16 v140, v81, v51, v140
	v_mul_f16_sdwa v51, v81, v51 dst_sel:DWORD dst_unused:UNUSED_PAD src0_sel:WORD_1 src1_sel:DWORD
	v_fma_f16 v51, v81, v142, -v51
	v_mul_f16_sdwa v142, v81, v144 dst_sel:DWORD dst_unused:UNUSED_PAD src0_sel:WORD_1 src1_sel:DWORD
	v_lshrrev_b32_e32 v146, 16, v78
	v_fma_f16 v142, v81, v77, v142
	v_mul_f16_sdwa v77, v81, v77 dst_sel:DWORD dst_unused:UNUSED_PAD src0_sel:WORD_1 src1_sel:DWORD
	ds_read2_b32 v[138:139], v47 offset0:128 offset1:184
	v_fma_f16 v77, v81, v144, -v77
	v_mul_f16_sdwa v144, v81, v146 dst_sel:DWORD dst_unused:UNUSED_PAD src0_sel:WORD_1 src1_sel:DWORD
	s_waitcnt lgkmcnt(2)
	v_lshrrev_b32_e32 v148, 16, v82
	v_fma_f16 v144, v81, v78, v144
	v_mul_f16_sdwa v78, v81, v78 dst_sel:DWORD dst_unused:UNUSED_PAD src0_sel:WORD_1 src1_sel:DWORD
	v_fma_f16 v78, v81, v146, -v78
	v_mul_f16_sdwa v146, v81, v148 dst_sel:DWORD dst_unused:UNUSED_PAD src0_sel:WORD_1 src1_sel:DWORD
	v_lshrrev_b32_e32 v150, 16, v83
	v_fma_f16 v146, v81, v82, v146
	v_mul_f16_sdwa v82, v81, v82 dst_sel:DWORD dst_unused:UNUSED_PAD src0_sel:WORD_1 src1_sel:DWORD
	v_fma_f16 v82, v81, v148, -v82
	v_mul_f16_sdwa v148, v81, v150 dst_sel:DWORD dst_unused:UNUSED_PAD src0_sel:WORD_1 src1_sel:DWORD
	s_waitcnt lgkmcnt(0)
	v_lshrrev_b32_e32 v152, 16, v138
	v_fma_f16 v148, v81, v83, v148
	v_mul_f16_sdwa v83, v81, v83 dst_sel:DWORD dst_unused:UNUSED_PAD src0_sel:WORD_1 src1_sel:DWORD
	v_fma_f16 v83, v81, v150, -v83
	v_mul_f16_sdwa v150, v81, v152 dst_sel:DWORD dst_unused:UNUSED_PAD src0_sel:WORD_1 src1_sel:DWORD
	v_lshrrev_b32_e32 v154, 16, v139
	v_fma_f16 v150, v81, v138, v150
	v_mul_f16_sdwa v138, v81, v138 dst_sel:DWORD dst_unused:UNUSED_PAD src0_sel:WORD_1 src1_sel:DWORD
	v_fma_f16 v138, v81, v152, -v138
	v_mul_f16_sdwa v152, v81, v154 dst_sel:DWORD dst_unused:UNUSED_PAD src0_sel:WORD_1 src1_sel:DWORD
	v_lshrrev_b32_e32 v38, 16, v36
	v_fma_f16 v152, v81, v139, v152
	v_mul_f16_sdwa v139, v81, v139 dst_sel:DWORD dst_unused:UNUSED_PAD src0_sel:WORD_1 src1_sel:DWORD
	v_lshrrev_b32_e32 v84, 16, v37
	v_fma_f16 v81, v81, v154, -v139
	v_sub_f16_e32 v139, v36, v155
	v_sub_f16_e32 v49, v38, v49
	v_lshrrev_b32_e32 v141, 16, v52
	v_fma_f16 v36, v36, 2.0, -v139
	v_fma_f16 v38, v38, 2.0, -v49
	v_sub_f16_e32 v54, v37, v54
	v_sub_f16_e32 v50, v84, v50
	v_lshrrev_b32_e32 v143, 16, v53
	v_fma_f16 v37, v37, 2.0, -v54
	v_fma_f16 v84, v84, 2.0, -v50
	v_sub_f16_e32 v140, v52, v140
	v_sub_f16_e32 v51, v141, v51
	v_pack_b32_f16 v36, v36, v38
	v_pack_b32_f16 v38, v139, v49
	v_lshrrev_b32_e32 v145, 16, v79
	v_fma_f16 v52, v52, 2.0, -v140
	v_fma_f16 v141, v141, 2.0, -v51
	v_sub_f16_e32 v142, v53, v142
	v_sub_f16_e32 v77, v143, v77
	s_waitcnt lgkmcnt(0)
	; wave barrier
	ds_write2_b32 v85, v36, v38 offset1:2
	v_pack_b32_f16 v36, v37, v84
	v_pack_b32_f16 v37, v54, v50
	v_lshrrev_b32_e32 v147, 16, v80
	v_fma_f16 v53, v53, 2.0, -v142
	v_fma_f16 v143, v143, 2.0, -v77
	v_sub_f16_e32 v144, v79, v144
	v_sub_f16_e32 v78, v145, v78
	ds_write2_b32 v86, v36, v37 offset1:2
	v_pack_b32_f16 v36, v52, v141
	v_pack_b32_f16 v37, v140, v51
	v_lshrrev_b32_e32 v149, 16, v134
	v_fma_f16 v79, v79, 2.0, -v144
	v_fma_f16 v145, v145, 2.0, -v78
	v_sub_f16_e32 v146, v80, v146
	v_sub_f16_e32 v82, v147, v82
	;; [unrolled: 8-line block ×4, first 2 shown]
	ds_write2_b32 v89, v36, v37 offset1:2
	v_pack_b32_f16 v36, v80, v147
	v_pack_b32_f16 v37, v146, v82
	v_fma_f16 v135, v135, 2.0, -v150
	v_fma_f16 v151, v151, 2.0, -v138
	v_sub_f16_e32 v152, v48, v152
	v_sub_f16_e32 v81, v153, v81
	ds_write2_b32 v91, v36, v37 offset1:2
	v_pack_b32_f16 v36, v134, v149
	v_pack_b32_f16 v37, v148, v83
	v_fma_f16 v48, v48, 2.0, -v152
	v_fma_f16 v153, v153, 2.0, -v81
	ds_write2_b32 v92, v36, v37 offset1:2
	v_pack_b32_f16 v36, v135, v151
	v_pack_b32_f16 v37, v150, v138
	ds_write2_b32 v93, v36, v37 offset1:2
	v_pack_b32_f16 v36, v48, v153
	v_pack_b32_f16 v37, v152, v81
	ds_write2_b32 v94, v36, v37 offset1:2
	s_waitcnt lgkmcnt(0)
	; wave barrier
	s_waitcnt lgkmcnt(0)
	ds_read2_b32 v[36:37], v62 offset1:56
	ds_read2_b32 v[48:49], v45 offset0:192 offset1:248
	ds_read2_b32 v[50:51], v44 offset0:48 offset1:104
	;; [unrolled: 1-line block ×7, first 2 shown]
	s_waitcnt lgkmcnt(6)
	v_lshrrev_b32_e32 v54, 16, v49
	v_mul_f16_sdwa v145, v90, v54 dst_sel:DWORD dst_unused:UNUSED_PAD src0_sel:WORD_1 src1_sel:DWORD
	s_waitcnt lgkmcnt(5)
	v_lshrrev_b32_e32 v88, 16, v50
	v_fma_f16 v145, v90, v49, v145
	v_mul_f16_sdwa v49, v90, v49 dst_sel:DWORD dst_unused:UNUSED_PAD src0_sel:WORD_1 src1_sel:DWORD
	v_fma_f16 v49, v90, v54, -v49
	v_mul_f16_sdwa v54, v90, v88 dst_sel:DWORD dst_unused:UNUSED_PAD src0_sel:WORD_1 src1_sel:DWORD
	v_lshrrev_b32_e32 v91, 16, v51
	v_fma_f16 v54, v90, v50, v54
	v_mul_f16_sdwa v50, v90, v50 dst_sel:DWORD dst_unused:UNUSED_PAD src0_sel:WORD_1 src1_sel:DWORD
	v_fma_f16 v50, v90, v88, -v50
	v_mul_f16_sdwa v88, v90, v91 dst_sel:DWORD dst_unused:UNUSED_PAD src0_sel:WORD_1 src1_sel:DWORD
	s_waitcnt lgkmcnt(3)
	v_lshrrev_b32_e32 v93, 16, v77
	v_fma_f16 v88, v90, v51, v88
	v_mul_f16_sdwa v51, v90, v51 dst_sel:DWORD dst_unused:UNUSED_PAD src0_sel:WORD_1 src1_sel:DWORD
	v_fma_f16 v51, v90, v91, -v51
	v_mul_f16_sdwa v91, v90, v93 dst_sel:DWORD dst_unused:UNUSED_PAD src0_sel:WORD_1 src1_sel:DWORD
	v_lshrrev_b32_e32 v134, 16, v78
	v_fma_f16 v91, v90, v77, v91
	v_mul_f16_sdwa v77, v90, v77 dst_sel:DWORD dst_unused:UNUSED_PAD src0_sel:WORD_1 src1_sel:DWORD
	ds_read2_b32 v[85:86], v47 offset0:128 offset1:184
	v_fma_f16 v77, v90, v93, -v77
	v_mul_f16_sdwa v93, v90, v134 dst_sel:DWORD dst_unused:UNUSED_PAD src0_sel:WORD_1 src1_sel:DWORD
	s_waitcnt lgkmcnt(2)
	v_lshrrev_b32_e32 v138, 16, v81
	v_fma_f16 v93, v90, v78, v93
	v_mul_f16_sdwa v78, v90, v78 dst_sel:DWORD dst_unused:UNUSED_PAD src0_sel:WORD_1 src1_sel:DWORD
	v_fma_f16 v78, v90, v134, -v78
	v_mul_f16_sdwa v134, v90, v138 dst_sel:DWORD dst_unused:UNUSED_PAD src0_sel:WORD_1 src1_sel:DWORD
	v_lshrrev_b32_e32 v140, 16, v82
	v_fma_f16 v134, v90, v81, v134
	v_mul_f16_sdwa v81, v90, v81 dst_sel:DWORD dst_unused:UNUSED_PAD src0_sel:WORD_1 src1_sel:DWORD
	v_fma_f16 v81, v90, v138, -v81
	v_mul_f16_sdwa v138, v90, v140 dst_sel:DWORD dst_unused:UNUSED_PAD src0_sel:WORD_1 src1_sel:DWORD
	s_waitcnt lgkmcnt(0)
	v_lshrrev_b32_e32 v142, 16, v85
	v_fma_f16 v138, v90, v82, v138
	v_mul_f16_sdwa v82, v90, v82 dst_sel:DWORD dst_unused:UNUSED_PAD src0_sel:WORD_1 src1_sel:DWORD
	v_fma_f16 v82, v90, v140, -v82
	v_mul_f16_sdwa v140, v90, v142 dst_sel:DWORD dst_unused:UNUSED_PAD src0_sel:WORD_1 src1_sel:DWORD
	v_lshrrev_b32_e32 v144, 16, v86
	v_fma_f16 v140, v90, v85, v140
	v_mul_f16_sdwa v85, v90, v85 dst_sel:DWORD dst_unused:UNUSED_PAD src0_sel:WORD_1 src1_sel:DWORD
	v_fma_f16 v85, v90, v142, -v85
	v_mul_f16_sdwa v142, v90, v144 dst_sel:DWORD dst_unused:UNUSED_PAD src0_sel:WORD_1 src1_sel:DWORD
	v_lshrrev_b32_e32 v38, 16, v36
	v_fma_f16 v142, v90, v86, v142
	v_mul_f16_sdwa v86, v90, v86 dst_sel:DWORD dst_unused:UNUSED_PAD src0_sel:WORD_1 src1_sel:DWORD
	v_lshrrev_b32_e32 v87, 16, v37
	v_fma_f16 v86, v90, v144, -v86
	v_sub_f16_e32 v90, v36, v145
	v_sub_f16_e32 v49, v38, v49
	v_lshrrev_b32_e32 v89, 16, v52
	v_fma_f16 v36, v36, 2.0, -v90
	v_fma_f16 v38, v38, 2.0, -v49
	v_sub_f16_e32 v54, v37, v54
	v_sub_f16_e32 v50, v87, v50
	v_lshrrev_b32_e32 v92, 16, v53
	v_fma_f16 v37, v37, 2.0, -v54
	v_fma_f16 v87, v87, 2.0, -v50
	v_sub_f16_e32 v88, v52, v88
	v_sub_f16_e32 v51, v89, v51
	v_pack_b32_f16 v36, v36, v38
	v_pack_b32_f16 v38, v90, v49
	v_lshrrev_b32_e32 v94, 16, v79
	v_fma_f16 v52, v52, 2.0, -v88
	v_fma_f16 v89, v89, 2.0, -v51
	v_sub_f16_e32 v91, v53, v91
	v_sub_f16_e32 v77, v92, v77
	s_waitcnt lgkmcnt(0)
	; wave barrier
	ds_write2_b32 v95, v36, v38 offset1:4
	v_pack_b32_f16 v36, v37, v87
	v_pack_b32_f16 v37, v54, v50
	v_lshrrev_b32_e32 v135, 16, v80
	v_fma_f16 v53, v53, 2.0, -v91
	v_fma_f16 v92, v92, 2.0, -v77
	v_sub_f16_e32 v93, v79, v93
	v_sub_f16_e32 v78, v94, v78
	ds_write2_b32 v96, v36, v37 offset1:4
	v_pack_b32_f16 v36, v52, v89
	v_pack_b32_f16 v37, v88, v51
	v_lshrrev_b32_e32 v139, 16, v83
	v_fma_f16 v79, v79, 2.0, -v93
	v_fma_f16 v94, v94, 2.0, -v78
	v_sub_f16_e32 v134, v80, v134
	v_sub_f16_e32 v81, v135, v81
	;; [unrolled: 8-line block ×4, first 2 shown]
	ds_write2_b32 v99, v36, v37 offset1:4
	v_pack_b32_f16 v36, v80, v135
	v_pack_b32_f16 v37, v134, v81
	v_fma_f16 v84, v84, 2.0, -v140
	v_fma_f16 v141, v141, 2.0, -v85
	v_sub_f16_e32 v142, v48, v142
	v_sub_f16_e32 v86, v143, v86
	ds_write2_b32 v101, v36, v37 offset1:4
	v_pack_b32_f16 v36, v83, v139
	v_pack_b32_f16 v37, v138, v82
	v_fma_f16 v48, v48, 2.0, -v142
	v_fma_f16 v143, v143, 2.0, -v86
	ds_write2_b32 v102, v36, v37 offset1:4
	v_pack_b32_f16 v36, v84, v141
	v_pack_b32_f16 v37, v140, v85
	ds_write2_b32 v103, v36, v37 offset1:4
	v_pack_b32_f16 v36, v48, v143
	v_pack_b32_f16 v37, v142, v86
	ds_write2_b32 v104, v36, v37 offset1:4
	s_waitcnt lgkmcnt(0)
	; wave barrier
	s_waitcnt lgkmcnt(0)
	ds_read2_b32 v[36:37], v62 offset1:56
	ds_read2_b32 v[48:49], v45 offset0:192 offset1:248
	ds_read2_b32 v[50:51], v44 offset0:48 offset1:104
	;; [unrolled: 1-line block ×7, first 2 shown]
	s_waitcnt lgkmcnt(6)
	v_lshrrev_b32_e32 v54, 16, v49
	v_mul_f16_sdwa v104, v100, v54 dst_sel:DWORD dst_unused:UNUSED_PAD src0_sel:WORD_1 src1_sel:DWORD
	s_waitcnt lgkmcnt(5)
	v_lshrrev_b32_e32 v88, 16, v50
	v_fma_f16 v104, v100, v49, v104
	v_mul_f16_sdwa v49, v100, v49 dst_sel:DWORD dst_unused:UNUSED_PAD src0_sel:WORD_1 src1_sel:DWORD
	v_fma_f16 v49, v100, v54, -v49
	v_mul_f16_sdwa v54, v100, v88 dst_sel:DWORD dst_unused:UNUSED_PAD src0_sel:WORD_1 src1_sel:DWORD
	v_lshrrev_b32_e32 v90, 16, v51
	v_fma_f16 v54, v100, v50, v54
	v_mul_f16_sdwa v50, v100, v50 dst_sel:DWORD dst_unused:UNUSED_PAD src0_sel:WORD_1 src1_sel:DWORD
	v_fma_f16 v50, v100, v88, -v50
	v_mul_f16_sdwa v88, v100, v90 dst_sel:DWORD dst_unused:UNUSED_PAD src0_sel:WORD_1 src1_sel:DWORD
	s_waitcnt lgkmcnt(3)
	v_lshrrev_b32_e32 v92, 16, v77
	v_fma_f16 v88, v100, v51, v88
	v_mul_f16_sdwa v51, v100, v51 dst_sel:DWORD dst_unused:UNUSED_PAD src0_sel:WORD_1 src1_sel:DWORD
	v_fma_f16 v51, v100, v90, -v51
	v_mul_f16_sdwa v90, v100, v92 dst_sel:DWORD dst_unused:UNUSED_PAD src0_sel:WORD_1 src1_sel:DWORD
	v_lshrrev_b32_e32 v94, 16, v78
	v_fma_f16 v90, v100, v77, v90
	v_mul_f16_sdwa v77, v100, v77 dst_sel:DWORD dst_unused:UNUSED_PAD src0_sel:WORD_1 src1_sel:DWORD
	ds_read2_b32 v[85:86], v47 offset0:128 offset1:184
	v_fma_f16 v77, v100, v92, -v77
	v_mul_f16_sdwa v92, v100, v94 dst_sel:DWORD dst_unused:UNUSED_PAD src0_sel:WORD_1 src1_sel:DWORD
	s_waitcnt lgkmcnt(2)
	v_lshrrev_b32_e32 v96, 16, v81
	v_fma_f16 v92, v100, v78, v92
	v_mul_f16_sdwa v78, v100, v78 dst_sel:DWORD dst_unused:UNUSED_PAD src0_sel:WORD_1 src1_sel:DWORD
	v_fma_f16 v78, v100, v94, -v78
	v_mul_f16_sdwa v94, v100, v96 dst_sel:DWORD dst_unused:UNUSED_PAD src0_sel:WORD_1 src1_sel:DWORD
	v_lshrrev_b32_e32 v98, 16, v82
	v_fma_f16 v94, v100, v81, v94
	v_mul_f16_sdwa v81, v100, v81 dst_sel:DWORD dst_unused:UNUSED_PAD src0_sel:WORD_1 src1_sel:DWORD
	v_fma_f16 v81, v100, v96, -v81
	v_mul_f16_sdwa v96, v100, v98 dst_sel:DWORD dst_unused:UNUSED_PAD src0_sel:WORD_1 src1_sel:DWORD
	s_waitcnt lgkmcnt(0)
	v_lshrrev_b32_e32 v101, 16, v85
	v_fma_f16 v96, v100, v82, v96
	v_mul_f16_sdwa v82, v100, v82 dst_sel:DWORD dst_unused:UNUSED_PAD src0_sel:WORD_1 src1_sel:DWORD
	v_fma_f16 v82, v100, v98, -v82
	v_mul_f16_sdwa v98, v100, v101 dst_sel:DWORD dst_unused:UNUSED_PAD src0_sel:WORD_1 src1_sel:DWORD
	v_lshrrev_b32_e32 v103, 16, v86
	v_fma_f16 v98, v100, v85, v98
	v_mul_f16_sdwa v85, v100, v85 dst_sel:DWORD dst_unused:UNUSED_PAD src0_sel:WORD_1 src1_sel:DWORD
	v_fma_f16 v85, v100, v101, -v85
	v_mul_f16_sdwa v101, v100, v103 dst_sel:DWORD dst_unused:UNUSED_PAD src0_sel:WORD_1 src1_sel:DWORD
	v_lshrrev_b32_e32 v38, 16, v36
	v_fma_f16 v101, v100, v86, v101
	v_mul_f16_sdwa v86, v100, v86 dst_sel:DWORD dst_unused:UNUSED_PAD src0_sel:WORD_1 src1_sel:DWORD
	v_lshrrev_b32_e32 v87, 16, v37
	v_fma_f16 v86, v100, v103, -v86
	v_sub_f16_e32 v100, v36, v104
	v_sub_f16_e32 v49, v38, v49
	v_lshrrev_b32_e32 v89, 16, v52
	v_fma_f16 v36, v36, 2.0, -v100
	v_fma_f16 v38, v38, 2.0, -v49
	v_sub_f16_e32 v54, v37, v54
	v_sub_f16_e32 v50, v87, v50
	v_lshrrev_b32_e32 v91, 16, v53
	v_fma_f16 v37, v37, 2.0, -v54
	v_fma_f16 v87, v87, 2.0, -v50
	v_sub_f16_e32 v88, v52, v88
	v_sub_f16_e32 v51, v89, v51
	v_pack_b32_f16 v36, v36, v38
	v_pack_b32_f16 v38, v100, v49
	v_lshrrev_b32_e32 v93, 16, v79
	v_fma_f16 v52, v52, 2.0, -v88
	v_fma_f16 v89, v89, 2.0, -v51
	v_sub_f16_e32 v90, v53, v90
	v_sub_f16_e32 v77, v91, v77
	s_waitcnt lgkmcnt(0)
	; wave barrier
	ds_write2_b32 v105, v36, v38 offset1:8
	v_pack_b32_f16 v36, v37, v87
	v_pack_b32_f16 v37, v54, v50
	v_lshrrev_b32_e32 v95, 16, v80
	v_fma_f16 v53, v53, 2.0, -v90
	v_fma_f16 v91, v91, 2.0, -v77
	v_sub_f16_e32 v92, v79, v92
	v_sub_f16_e32 v78, v93, v78
	ds_write2_b32 v106, v36, v37 offset1:8
	v_pack_b32_f16 v36, v52, v89
	v_pack_b32_f16 v37, v88, v51
	v_lshrrev_b32_e32 v97, 16, v83
	v_fma_f16 v79, v79, 2.0, -v92
	v_fma_f16 v93, v93, 2.0, -v78
	v_sub_f16_e32 v94, v80, v94
	v_sub_f16_e32 v81, v95, v81
	ds_write2_b32 v107, v36, v37 offset1:8
	v_pack_b32_f16 v36, v53, v91
	v_pack_b32_f16 v37, v90, v77
	v_lshrrev_b32_e32 v99, 16, v84
	v_fma_f16 v80, v80, 2.0, -v94
	v_fma_f16 v95, v95, 2.0, -v81
	v_sub_f16_e32 v96, v83, v96
	v_sub_f16_e32 v82, v97, v82
	ds_write2_b32 v108, v36, v37 offset1:8
	v_pack_b32_f16 v36, v79, v93
	v_pack_b32_f16 v37, v92, v78
	v_lshrrev_b32_e32 v102, 16, v48
	v_fma_f16 v83, v83, 2.0, -v96
	v_fma_f16 v97, v97, 2.0, -v82
	v_sub_f16_e32 v98, v84, v98
	v_sub_f16_e32 v85, v99, v85
	ds_write2_b32 v109, v36, v37 offset1:8
	v_pack_b32_f16 v36, v80, v95
	v_pack_b32_f16 v37, v94, v81
	v_fma_f16 v84, v84, 2.0, -v98
	v_fma_f16 v99, v99, 2.0, -v85
	v_sub_f16_e32 v101, v48, v101
	v_sub_f16_e32 v86, v102, v86
	ds_write2_b32 v110, v36, v37 offset1:8
	v_pack_b32_f16 v36, v83, v97
	v_pack_b32_f16 v37, v96, v82
	v_fma_f16 v48, v48, 2.0, -v101
	v_fma_f16 v102, v102, 2.0, -v86
	ds_write2_b32 v111, v36, v37 offset1:8
	v_pack_b32_f16 v36, v84, v99
	v_pack_b32_f16 v37, v98, v85
	ds_write2_b32 v112, v36, v37 offset1:8
	v_pack_b32_f16 v36, v48, v102
	v_pack_b32_f16 v37, v101, v86
	ds_write2_b32 v113, v36, v37 offset1:8
	s_waitcnt lgkmcnt(0)
	; wave barrier
	s_waitcnt lgkmcnt(0)
	ds_read2_b32 v[36:37], v62 offset1:56
	ds_read2_b32 v[48:49], v45 offset0:80 offset1:136
	ds_read2_b32 v[50:51], v44 offset0:160 offset1:216
	;; [unrolled: 1-line block ×8, first 2 shown]
	s_waitcnt lgkmcnt(8)
	v_lshrrev_b32_e32 v38, 16, v36
	s_waitcnt lgkmcnt(7)
	v_lshrrev_b32_e32 v54, 16, v48
	v_mul_f16_sdwa v103, v13, v54 dst_sel:DWORD dst_unused:UNUSED_PAD src0_sel:WORD_1 src1_sel:DWORD
	s_waitcnt lgkmcnt(6)
	v_lshrrev_b32_e32 v87, 16, v50
	v_fma_f16 v103, v13, v48, v103
	v_mul_f16_sdwa v48, v13, v48 dst_sel:DWORD dst_unused:UNUSED_PAD src0_sel:WORD_1 src1_sel:DWORD
	v_fma_f16 v48, v13, v54, -v48
	v_mul_f16_sdwa v54, v14, v87 dst_sel:DWORD dst_unused:UNUSED_PAD src0_sel:WORD_1 src1_sel:DWORD
	v_lshrrev_b32_e32 v89, 16, v49
	v_fma_f16 v54, v14, v50, v54
	v_mul_f16_sdwa v50, v14, v50 dst_sel:DWORD dst_unused:UNUSED_PAD src0_sel:WORD_1 src1_sel:DWORD
	v_fma_f16 v50, v14, v87, -v50
	v_mul_f16_sdwa v87, v119, v89 dst_sel:DWORD dst_unused:UNUSED_PAD src0_sel:WORD_1 src1_sel:DWORD
	;; [unrolled: 5-line block ×3, first 2 shown]
	s_waitcnt lgkmcnt(4)
	v_lshrrev_b32_e32 v92, 16, v77
	v_fma_f16 v89, v128, v51, v89
	v_mul_f16_sdwa v51, v114, v51 dst_sel:DWORD dst_unused:UNUSED_PAD src0_sel:WORD_1 src1_sel:DWORD
	v_fma_f16 v51, v128, v90, -v51
	v_mul_f16_sdwa v90, v13, v92 dst_sel:DWORD dst_unused:UNUSED_PAD src0_sel:WORD_1 src1_sel:DWORD
	s_waitcnt lgkmcnt(3)
	v_lshrrev_b32_e32 v93, 16, v79
	v_fma_f16 v90, v13, v77, v90
	v_mul_f16_sdwa v77, v13, v77 dst_sel:DWORD dst_unused:UNUSED_PAD src0_sel:WORD_1 src1_sel:DWORD
	v_fma_f16 v77, v13, v92, -v77
	v_mul_f16_sdwa v92, v14, v93 dst_sel:DWORD dst_unused:UNUSED_PAD src0_sel:WORD_1 src1_sel:DWORD
	v_lshrrev_b32_e32 v95, 16, v78
	v_fma_f16 v92, v14, v79, v92
	v_mul_f16_sdwa v79, v14, v79 dst_sel:DWORD dst_unused:UNUSED_PAD src0_sel:WORD_1 src1_sel:DWORD
	v_fma_f16 v79, v14, v93, -v79
	v_mul_f16_e32 v93, v122, v95
	v_lshrrev_b32_e32 v96, 16, v80
	v_fma_f16 v93, v120, v78, v93
	v_mul_f16_e32 v78, v122, v78
	v_fma_f16 v78, v120, v95, -v78
	v_mul_f16_e32 v95, v126, v96
	s_waitcnt lgkmcnt(1)
	v_lshrrev_b32_e32 v98, 16, v83
	v_fma_f16 v95, v125, v80, v95
	v_mul_f16_e32 v80, v126, v80
	v_fma_f16 v80, v125, v96, -v80
	v_mul_f16_sdwa v96, v13, v98 dst_sel:DWORD dst_unused:UNUSED_PAD src0_sel:WORD_1 src1_sel:DWORD
	s_waitcnt lgkmcnt(0)
	v_lshrrev_b32_e32 v99, 16, v85
	v_fma_f16 v96, v13, v83, v96
	v_mul_f16_sdwa v83, v13, v83 dst_sel:DWORD dst_unused:UNUSED_PAD src0_sel:WORD_1 src1_sel:DWORD
	v_fma_f16 v13, v13, v98, -v83
	v_mul_f16_sdwa v83, v14, v99 dst_sel:DWORD dst_unused:UNUSED_PAD src0_sel:WORD_1 src1_sel:DWORD
	v_lshrrev_b32_e32 v101, 16, v84
	v_fma_f16 v83, v14, v85, v83
	v_mul_f16_sdwa v85, v14, v85 dst_sel:DWORD dst_unused:UNUSED_PAD src0_sel:WORD_1 src1_sel:DWORD
	v_fma_f16 v14, v14, v99, -v85
	v_mul_f16_e32 v85, v116, v101
	v_lshrrev_b32_e32 v102, 16, v86
	v_fma_f16 v85, v119, v84, v85
	v_mul_f16_e32 v84, v116, v84
	v_fma_f16 v84, v119, v101, -v84
	v_mul_f16_e32 v98, v115, v102
	v_add_f16_e32 v101, v103, v54
	v_fma_f16 v98, v114, v86, v98
	v_mul_f16_e32 v86, v115, v86
	v_add_f16_e32 v99, v36, v103
	v_fma_f16 v36, v101, -0.5, v36
	v_sub_f16_e32 v101, v48, v50
	v_fma_f16 v86, v114, v102, -v86
	v_fma_f16 v102, v101, s0, v36
	v_fma_f16 v36, v101, s1, v36
	v_add_f16_e32 v101, v38, v48
	v_add_f16_e32 v48, v48, v50
	;; [unrolled: 1-line block ×3, first 2 shown]
	v_fma_f16 v38, v48, -0.5, v38
	v_sub_f16_e32 v48, v103, v54
	v_add_f16_e32 v54, v87, v89
	v_lshrrev_b32_e32 v88, 16, v37
	v_add_f16_e32 v101, v101, v50
	v_fma_f16 v50, v48, s1, v38
	v_fma_f16 v38, v48, s0, v38
	v_add_f16_e32 v48, v37, v87
	v_fma_f16 v37, v54, -0.5, v37
	v_sub_f16_e32 v54, v49, v51
	v_fma_f16 v103, v54, s0, v37
	v_fma_f16 v37, v54, s1, v37
	v_add_f16_e32 v54, v88, v49
	v_add_f16_e32 v49, v49, v51
	v_add_f16_e32 v54, v54, v51
	v_fma_f16 v49, v49, -0.5, v88
	v_sub_f16_e32 v51, v87, v89
	v_add_f16_e32 v88, v90, v92
	v_lshrrev_b32_e32 v91, 16, v52
	v_fma_f16 v87, v51, s1, v49
	v_fma_f16 v49, v51, s0, v49
	v_add_f16_e32 v51, v52, v90
	v_fma_f16 v52, v88, -0.5, v52
	v_sub_f16_e32 v88, v77, v79
	v_add_f16_e32 v48, v48, v89
	v_fma_f16 v89, v88, s0, v52
	v_fma_f16 v52, v88, s1, v52
	v_add_f16_e32 v88, v91, v77
	v_add_f16_e32 v77, v77, v79
	v_add_f16_e32 v88, v88, v79
	v_fma_f16 v77, v77, -0.5, v91
	v_sub_f16_e32 v79, v90, v92
	v_add_f16_e32 v91, v93, v95
	v_lshrrev_b32_e32 v94, 16, v53
	v_fma_f16 v90, v79, s1, v77
	v_fma_f16 v77, v79, s0, v77
	v_add_f16_e32 v79, v53, v93
	v_fma_f16 v53, v91, -0.5, v53
	v_sub_f16_e32 v91, v78, v80
	v_add_f16_e32 v51, v51, v92
	;; [unrolled: 15-line block ×3, first 2 shown]
	v_fma_f16 v95, v94, s0, v81
	v_fma_f16 v81, v94, s1, v81
	v_add_f16_e32 v94, v97, v13
	v_add_f16_e32 v13, v13, v14
	;; [unrolled: 1-line block ×3, first 2 shown]
	v_fma_f16 v13, v13, -0.5, v97
	v_sub_f16_e32 v14, v96, v83
	v_add_f16_e32 v96, v85, v98
	v_lshrrev_b32_e32 v100, 16, v82
	v_add_f16_e32 v80, v80, v83
	v_fma_f16 v83, v14, s1, v13
	v_fma_f16 v13, v14, s0, v13
	v_add_f16_e32 v14, v82, v85
	v_fma_f16 v82, v96, -0.5, v82
	v_sub_f16_e32 v96, v84, v86
	v_fma_f16 v97, v96, s0, v82
	v_fma_f16 v82, v96, s1, v82
	v_add_f16_e32 v96, v100, v84
	v_add_f16_e32 v84, v84, v86
	v_fma_f16 v84, v84, -0.5, v100
	v_sub_f16_e32 v85, v85, v98
	v_pack_b32_f16 v36, v36, v38
	v_add_f16_e32 v96, v96, v86
	v_fma_f16 v86, v85, s1, v84
	v_fma_f16 v84, v85, s0, v84
	s_waitcnt lgkmcnt(0)
	; wave barrier
	v_pack_b32_f16 v85, v99, v101
	v_pack_b32_f16 v50, v102, v50
	ds_write_b32 v117, v36 offset:128
	v_pack_b32_f16 v36, v48, v54
	v_pack_b32_f16 v38, v103, v87
	ds_write2_b32 v117, v85, v50 offset1:16
	ds_write2_b32 v118, v36, v38 offset1:16
	v_pack_b32_f16 v36, v37, v49
	ds_write_b32 v118, v36 offset:128
	v_pack_b32_f16 v36, v51, v88
	v_pack_b32_f16 v37, v89, v90
	ds_write2_b32 v121, v36, v37 offset1:16
	v_pack_b32_f16 v36, v52, v77
	ds_write_b32 v121, v36 offset:128
	v_pack_b32_f16 v36, v79, v91
	v_pack_b32_f16 v37, v92, v93
	v_add_f16_e32 v14, v14, v98
	ds_write2_b32 v124, v36, v37 offset1:16
	v_pack_b32_f16 v36, v53, v78
	v_pack_b32_f16 v13, v81, v13
	ds_write_b32 v124, v36 offset:128
	v_pack_b32_f16 v36, v80, v94
	v_pack_b32_f16 v37, v95, v83
	ds_write_b32 v127, v13 offset:128
	v_pack_b32_f16 v13, v14, v96
	v_pack_b32_f16 v14, v97, v86
	ds_write2_b32 v127, v36, v37 offset1:16
	ds_write2_b32 v129, v13, v14 offset1:16
	v_pack_b32_f16 v13, v82, v84
	ds_write_b32 v129, v13 offset:128
	s_waitcnt lgkmcnt(0)
	; wave barrier
	s_waitcnt lgkmcnt(0)
	ds_read2_b32 v[13:14], v62 offset1:56
	ds_read2_b32 v[36:37], v45 offset0:80 offset1:136
	ds_read2_b32 v[48:49], v44 offset0:160 offset1:216
	;; [unrolled: 1-line block ×8, first 2 shown]
	s_waitcnt lgkmcnt(8)
	v_lshrrev_b32_e32 v38, 16, v13
	s_waitcnt lgkmcnt(7)
	v_lshrrev_b32_e32 v54, 16, v36
	v_mul_f16_sdwa v100, v19, v54 dst_sel:DWORD dst_unused:UNUSED_PAD src0_sel:WORD_1 src1_sel:DWORD
	s_waitcnt lgkmcnt(6)
	v_lshrrev_b32_e32 v85, 16, v48
	v_fma_f16 v100, v19, v36, v100
	v_mul_f16_sdwa v36, v19, v36 dst_sel:DWORD dst_unused:UNUSED_PAD src0_sel:WORD_1 src1_sel:DWORD
	v_fma_f16 v19, v19, v54, -v36
	v_mul_f16_sdwa v36, v20, v85 dst_sel:DWORD dst_unused:UNUSED_PAD src0_sel:WORD_1 src1_sel:DWORD
	v_lshrrev_b32_e32 v87, 16, v37
	v_fma_f16 v36, v20, v48, v36
	v_mul_f16_sdwa v48, v20, v48 dst_sel:DWORD dst_unused:UNUSED_PAD src0_sel:WORD_1 src1_sel:DWORD
	v_fma_f16 v20, v20, v85, -v48
	v_mul_f16_sdwa v48, v23, v87 dst_sel:DWORD dst_unused:UNUSED_PAD src0_sel:WORD_1 src1_sel:DWORD
	v_lshrrev_b32_e32 v88, 16, v49
	v_fma_f16 v48, v23, v37, v48
	v_mul_f16_sdwa v37, v23, v37 dst_sel:DWORD dst_unused:UNUSED_PAD src0_sel:WORD_1 src1_sel:DWORD
	v_fma_f16 v23, v23, v87, -v37
	v_mul_f16_sdwa v37, v24, v88 dst_sel:DWORD dst_unused:UNUSED_PAD src0_sel:WORD_1 src1_sel:DWORD
	s_waitcnt lgkmcnt(4)
	v_lshrrev_b32_e32 v90, 16, v52
	v_fma_f16 v37, v24, v49, v37
	v_mul_f16_sdwa v49, v24, v49 dst_sel:DWORD dst_unused:UNUSED_PAD src0_sel:WORD_1 src1_sel:DWORD
	v_fma_f16 v24, v24, v88, -v49
	v_mul_f16_sdwa v49, v25, v90 dst_sel:DWORD dst_unused:UNUSED_PAD src0_sel:WORD_1 src1_sel:DWORD
	s_waitcnt lgkmcnt(3)
	v_lshrrev_b32_e32 v91, 16, v77
	v_fma_f16 v49, v25, v52, v49
	v_mul_f16_sdwa v52, v25, v52 dst_sel:DWORD dst_unused:UNUSED_PAD src0_sel:WORD_1 src1_sel:DWORD
	v_lshrrev_b32_e32 v35, 16, v53
	v_fma_f16 v25, v25, v90, -v52
	v_mul_f16_sdwa v52, v26, v91 dst_sel:DWORD dst_unused:UNUSED_PAD src0_sel:WORD_1 src1_sel:DWORD
	v_mul_f16_sdwa v54, v26, v77 dst_sel:DWORD dst_unused:UNUSED_PAD src0_sel:WORD_1 src1_sel:DWORD
	v_fma_f16 v52, v26, v77, v52
	v_fma_f16 v26, v26, v91, -v54
	v_mul_f16_sdwa v54, v27, v35 dst_sel:DWORD dst_unused:UNUSED_PAD src0_sel:WORD_1 src1_sel:DWORD
	v_lshrrev_b32_e32 v93, 16, v78
	v_fma_f16 v54, v27, v53, v54
	v_mul_f16_sdwa v53, v27, v53 dst_sel:DWORD dst_unused:UNUSED_PAD src0_sel:WORD_1 src1_sel:DWORD
	s_waitcnt lgkmcnt(1)
	v_lshrrev_b32_e32 v95, 16, v81
	v_fma_f16 v27, v27, v35, -v53
	v_mul_f16_sdwa v35, v28, v93 dst_sel:DWORD dst_unused:UNUSED_PAD src0_sel:WORD_1 src1_sel:DWORD
	v_mul_f16_sdwa v53, v28, v78 dst_sel:DWORD dst_unused:UNUSED_PAD src0_sel:WORD_1 src1_sel:DWORD
	s_waitcnt lgkmcnt(0)
	v_lshrrev_b32_e32 v96, 16, v83
	v_fma_f16 v35, v28, v78, v35
	v_fma_f16 v28, v28, v93, -v53
	v_mul_f16_sdwa v53, v21, v95 dst_sel:DWORD dst_unused:UNUSED_PAD src0_sel:WORD_1 src1_sel:DWORD
	v_mul_f16_sdwa v77, v21, v81 dst_sel:DWORD dst_unused:UNUSED_PAD src0_sel:WORD_1 src1_sel:DWORD
	v_lshrrev_b32_e32 v98, 16, v82
	v_fma_f16 v53, v21, v81, v53
	v_fma_f16 v21, v21, v95, -v77
	v_mul_f16_sdwa v77, v22, v96 dst_sel:DWORD dst_unused:UNUSED_PAD src0_sel:WORD_1 src1_sel:DWORD
	v_mul_f16_sdwa v78, v22, v83 dst_sel:DWORD dst_unused:UNUSED_PAD src0_sel:WORD_1 src1_sel:DWORD
	;; [unrolled: 5-line block ×3, first 2 shown]
	v_fma_f16 v78, v15, v82, v78
	v_fma_f16 v81, v15, v98, -v81
	v_mul_f16_sdwa v15, v16, v99 dst_sel:DWORD dst_unused:UNUSED_PAD src0_sel:WORD_1 src1_sel:DWORD
	v_fma_f16 v82, v16, v84, v15
	v_mul_f16_sdwa v15, v16, v84 dst_sel:DWORD dst_unused:UNUSED_PAD src0_sel:WORD_1 src1_sel:DWORD
	v_fma_f16 v83, v16, v99, -v15
	v_add_f16_e32 v15, v13, v100
	v_add_f16_e32 v84, v15, v36
	;; [unrolled: 1-line block ×3, first 2 shown]
	v_fma_f16 v13, v15, -0.5, v13
	v_sub_f16_e32 v15, v19, v20
	v_fma_f16 v85, v15, s0, v13
	v_fma_f16 v87, v15, s1, v13
	v_add_f16_e32 v13, v38, v19
	v_add_f16_e32 v88, v13, v20
	v_add_f16_e32 v13, v19, v20
	v_fma_f16 v13, v13, -0.5, v38
	v_sub_f16_e32 v15, v100, v36
	v_fma_f16 v19, v15, s1, v13
	v_fma_f16 v20, v15, s0, v13
	v_add_f16_e32 v13, v14, v48
	v_add_f16_e32 v36, v13, v37
	v_add_f16_e32 v13, v48, v37
	v_lshrrev_b32_e32 v86, 16, v14
	v_fma_f16 v13, v13, -0.5, v14
	v_sub_f16_e32 v14, v23, v24
	v_fma_f16 v38, v14, s0, v13
	v_fma_f16 v90, v14, s1, v13
	v_add_f16_e32 v13, v86, v23
	v_add_f16_e32 v91, v13, v24
	v_add_f16_e32 v13, v23, v24
	v_fma_f16 v13, v13, -0.5, v86
	v_sub_f16_e32 v14, v48, v37
	v_fma_f16 v23, v14, s1, v13
	v_fma_f16 v24, v14, s0, v13
	v_add_f16_e32 v13, v50, v49
	v_add_f16_e32 v37, v13, v52
	v_add_f16_e32 v13, v49, v52
	v_lshrrev_b32_e32 v89, 16, v50
	;; [unrolled: 15-line block ×4, first 2 shown]
	v_fma_f16 v13, v13, -0.5, v79
	v_sub_f16_e32 v14, v21, v22
	v_fma_f16 v54, v14, s0, v13
	v_fma_f16 v13, v14, s1, v13
	v_add_f16_e32 v14, v94, v21
	v_add_f16_e32 v79, v14, v22
	;; [unrolled: 1-line block ×3, first 2 shown]
	v_fma_f16 v14, v14, -0.5, v94
	v_sub_f16_e32 v15, v53, v77
	v_fma_f16 v21, v15, s1, v14
	v_fma_f16 v48, v15, s0, v14
	v_add_f16_e32 v15, v78, v82
	v_lshrrev_b32_e32 v97, 16, v80
	v_fma_f16 v16, v15, -0.5, v80
	v_sub_f16_e32 v22, v81, v83
	v_fma_f16 v15, v22, s0, v16
	v_fma_f16 v16, v22, s1, v16
	v_add_f16_e32 v22, v97, v81
	v_add_f16_e32 v50, v22, v83
	v_add_f16_e32 v22, v81, v83
	v_fma_f16 v22, v22, -0.5, v97
	v_sub_f16_e32 v51, v78, v82
	v_fma_f16 v49, v51, s1, v22
	v_fma_f16 v51, v51, s0, v22
	v_pack_b32_f16 v22, v84, v88
	v_pack_b32_f16 v19, v85, v19
	s_waitcnt lgkmcnt(0)
	; wave barrier
	ds_write2_b32 v130, v22, v19 offset1:48
	v_pack_b32_f16 v19, v87, v20
	ds_write_b32 v130, v19 offset:384
	v_pack_b32_f16 v19, v36, v91
	v_pack_b32_f16 v20, v38, v23
	ds_write2_b32 v131, v19, v20 offset1:48
	v_pack_b32_f16 v19, v90, v24
	ds_write_b32 v131, v19 offset:384
	v_pack_b32_f16 v19, v37, v95
	v_pack_b32_f16 v20, v86, v25
	ds_write2_b32 v132, v19, v20 offset1:48
	v_pack_b32_f16 v19, v93, v26
	ds_write_b32 v132, v19 offset:384
	v_pack_b32_f16 v19, v52, v98
	v_pack_b32_f16 v20, v89, v27
	ds_write2_b32 v133, v19, v20 offset1:48
	v_pack_b32_f16 v19, v96, v28
	v_add_f16_e32 v14, v80, v78
	ds_write_b32 v133, v19 offset:384
	v_pack_b32_f16 v19, v35, v79
	v_pack_b32_f16 v20, v54, v21
	v_add_f16_e32 v14, v14, v82
	ds_write2_b32 v136, v19, v20 offset1:48
	v_pack_b32_f16 v19, v13, v48
	ds_write_b32 v136, v19 offset:384
	v_pack_b32_f16 v19, v14, v50
	v_pack_b32_f16 v20, v15, v49
	ds_write2_b32 v137, v19, v20 offset1:48
	v_pack_b32_f16 v19, v16, v51
	ds_write_b32 v137, v19 offset:384
	s_waitcnt lgkmcnt(0)
	; wave barrier
	s_waitcnt lgkmcnt(0)
	ds_read2_b32 v[19:20], v62 offset1:56
	ds_read2_b32 v[37:38], v62 offset0:144 offset1:200
	ds_read2_b32 v[35:36], v45 offset0:32 offset1:88
	;; [unrolled: 1-line block ×6, first 2 shown]
	s_and_saveexec_b64 s[0:1], vcc
	s_cbranch_execz .LBB0_7
; %bb.6:
	v_add_u32_e32 v13, 0x100, v62
	ds_read2_b32 v[13:14], v13 offset0:48 offset1:192
	ds_read2_b32 v[15:16], v43 offset0:16 offset1:160
	;; [unrolled: 1-line block ×3, first 2 shown]
	ds_read_b32 v41, v62 offset:3904
	s_waitcnt lgkmcnt(3)
	v_lshrrev_b32_e32 v48, 16, v13
	v_lshrrev_b32_e32 v50, 16, v14
	s_waitcnt lgkmcnt(2)
	v_lshrrev_b32_e32 v49, 16, v15
	v_lshrrev_b32_e32 v51, 16, v16
	;; [unrolled: 3-line block ×3, first 2 shown]
	s_waitcnt lgkmcnt(0)
	v_lshrrev_b32_e32 v42, 16, v41
.LBB0_7:
	s_or_b64 exec, exec, s[0:1]
	s_waitcnt lgkmcnt(5)
	v_lshrrev_b32_e32 v43, 16, v37
	v_mul_f16_sdwa v81, v4, v43 dst_sel:DWORD dst_unused:UNUSED_PAD src0_sel:WORD_1 src1_sel:DWORD
	s_waitcnt lgkmcnt(4)
	v_lshrrev_b32_e32 v44, 16, v35
	v_fma_f16 v81, v4, v37, v81
	v_mul_f16_sdwa v37, v4, v37 dst_sel:DWORD dst_unused:UNUSED_PAD src0_sel:WORD_1 src1_sel:DWORD
	v_fma_f16 v4, v4, v43, -v37
	v_mul_f16_sdwa v37, v5, v44 dst_sel:DWORD dst_unused:UNUSED_PAD src0_sel:WORD_1 src1_sel:DWORD
	s_waitcnt lgkmcnt(3)
	v_lshrrev_b32_e32 v45, 16, v27
	v_fma_f16 v37, v5, v35, v37
	v_mul_f16_sdwa v35, v5, v35 dst_sel:DWORD dst_unused:UNUSED_PAD src0_sel:WORD_1 src1_sel:DWORD
	v_fma_f16 v5, v5, v44, -v35
	;; [unrolled: 6-line block ×5, first 2 shown]
	v_mul_f16_sdwa v29, v30, v52 dst_sel:DWORD dst_unused:UNUSED_PAD src0_sel:WORD_1 src1_sel:DWORD
	v_lshrrev_b32_e32 v53, 16, v38
	v_fma_f16 v29, v30, v21, v29
	v_mul_f16_sdwa v21, v30, v21 dst_sel:DWORD dst_unused:UNUSED_PAD src0_sel:WORD_1 src1_sel:DWORD
	v_fma_f16 v21, v30, v52, -v21
	v_mul_f16_sdwa v30, v8, v53 dst_sel:DWORD dst_unused:UNUSED_PAD src0_sel:WORD_1 src1_sel:DWORD
	v_lshrrev_b32_e32 v54, 16, v36
	v_fma_f16 v30, v8, v38, v30
	v_mul_f16_sdwa v38, v8, v38 dst_sel:DWORD dst_unused:UNUSED_PAD src0_sel:WORD_1 src1_sel:DWORD
	v_fma_f16 v8, v8, v53, -v38
	;; [unrolled: 5-line block ×6, first 2 shown]
	v_mul_f16_sdwa v31, v32, v80 dst_sel:DWORD dst_unused:UNUSED_PAD src0_sel:WORD_1 src1_sel:DWORD
	v_fma_f16 v31, v32, v22, v31
	v_mul_f16_sdwa v22, v32, v22 dst_sel:DWORD dst_unused:UNUSED_PAD src0_sel:WORD_1 src1_sel:DWORD
	v_fma_f16 v22, v32, v80, -v22
	v_add_f16_e32 v32, v81, v29
	v_add_f16_e32 v43, v4, v21
	v_sub_f16_e32 v4, v4, v21
	v_add_f16_e32 v21, v37, v25
	v_add_f16_e32 v44, v5, v23
	v_sub_f16_e32 v29, v81, v29
	v_sub_f16_e32 v25, v37, v25
	;; [unrolled: 1-line block ×3, first 2 shown]
	v_add_f16_e32 v23, v35, v27
	v_add_f16_e32 v37, v6, v7
	v_sub_f16_e32 v27, v27, v35
	v_sub_f16_e32 v6, v7, v6
	v_add_f16_e32 v7, v21, v32
	v_add_f16_e32 v35, v44, v43
	v_sub_f16_e32 v45, v21, v32
	v_sub_f16_e32 v46, v44, v43
	;; [unrolled: 1-line block ×6, first 2 shown]
	v_add_f16_e32 v47, v27, v25
	v_add_f16_e32 v52, v6, v5
	v_sub_f16_e32 v53, v27, v25
	v_sub_f16_e32 v54, v6, v5
	;; [unrolled: 1-line block ×4, first 2 shown]
	v_add_f16_e32 v7, v23, v7
	v_add_f16_e32 v23, v37, v35
	v_sub_f16_e32 v27, v29, v27
	v_sub_f16_e32 v6, v4, v6
	v_add_f16_e32 v29, v47, v29
	v_add_f16_e32 v4, v52, v4
	;; [unrolled: 1-line block ×3, first 2 shown]
	v_add_f16_sdwa v19, v19, v23 dst_sel:DWORD dst_unused:UNUSED_PAD src0_sel:WORD_1 src1_sel:DWORD
	v_mul_f16_e32 v32, 0x3a52, v32
	v_mul_f16_e32 v37, 0x3a52, v43
	s_movk_i32 s13, 0x2b26
	v_mul_f16_e32 v43, 0x2b26, v21
	v_mul_f16_e32 v47, 0x2b26, v44
	;; [unrolled: 1-line block ×4, first 2 shown]
	s_mov_b32 s4, 0xbb00
	v_mul_f16_e32 v54, 0xbb00, v25
	v_mul_f16_e32 v77, 0xbb00, v5
	s_mov_b32 s14, 0xbcab
	s_mov_b32 s15, 0xb574
	v_fma_f16 v7, v7, s14, v35
	v_fma_f16 v23, v23, s14, v19
	;; [unrolled: 1-line block ×4, first 2 shown]
	v_fma_f16 v43, v45, s5, -v43
	v_fma_f16 v47, v46, s5, -v47
	;; [unrolled: 1-line block ×4, first 2 shown]
	v_fma_f16 v45, v27, s15, v52
	v_fma_f16 v46, v6, s15, v53
	v_fma_f16 v5, v5, s4, -v53
	v_fma_f16 v27, v27, s7, -v54
	;; [unrolled: 1-line block ×3, first 2 shown]
	s_mov_b32 s12, 0xb70e
	v_fma_f16 v25, v25, s4, -v52
	v_add_f16_e32 v21, v21, v7
	v_add_f16_e32 v44, v44, v23
	;; [unrolled: 1-line block ×6, first 2 shown]
	v_fma_f16 v32, v29, s12, v45
	v_fma_f16 v37, v4, s12, v46
	v_fma_f16 v5, v4, s12, v5
	v_fma_f16 v27, v29, s12, v27
	v_fma_f16 v4, v4, s12, v6
	v_fma_f16 v25, v29, s12, v25
	v_sub_f16_e32 v29, v44, v32
	v_add_f16_e32 v45, v4, v7
	v_sub_f16_e32 v46, v23, v27
	v_sub_f16_e32 v4, v7, v4
	v_add_f16_e32 v7, v27, v23
	v_add_f16_e32 v23, v32, v44
	;; [unrolled: 1-line block ×4, first 2 shown]
	v_sub_f16_e32 v30, v30, v31
	v_sub_f16_e32 v8, v8, v22
	v_add_f16_e32 v22, v38, v26
	v_add_f16_e32 v31, v9, v24
	;; [unrolled: 1-line block ×3, first 2 shown]
	v_sub_f16_e32 v21, v21, v37
	v_sub_f16_e32 v26, v38, v26
	;; [unrolled: 1-line block ×3, first 2 shown]
	v_add_f16_e32 v24, v36, v28
	v_add_f16_e32 v37, v10, v11
	v_sub_f16_e32 v28, v28, v36
	v_sub_f16_e32 v10, v11, v10
	v_add_f16_e32 v11, v22, v27
	v_add_f16_e32 v36, v31, v32
	v_sub_f16_e32 v52, v43, v5
	v_add_f16_e32 v53, v25, v47
	v_add_f16_e32 v5, v5, v43
	v_sub_f16_e32 v25, v47, v25
	v_sub_f16_e32 v38, v22, v27
	;; [unrolled: 1-line block ×7, first 2 shown]
	v_add_f16_e32 v44, v28, v26
	v_add_f16_e32 v47, v10, v9
	v_sub_f16_e32 v54, v28, v26
	v_sub_f16_e32 v77, v10, v9
	v_add_f16_e32 v11, v24, v11
	v_add_f16_e32 v24, v37, v36
	v_sub_f16_e32 v28, v30, v28
	v_sub_f16_e32 v10, v8, v10
	;; [unrolled: 1-line block ×4, first 2 shown]
	v_add_f16_e32 v30, v44, v30
	v_add_f16_e32 v8, v47, v8
	;; [unrolled: 1-line block ×3, first 2 shown]
	v_add_f16_sdwa v20, v20, v24 dst_sel:DWORD dst_unused:UNUSED_PAD src0_sel:WORD_1 src1_sel:DWORD
	v_mul_f16_e32 v27, 0x3a52, v27
	v_mul_f16_e32 v32, 0x3a52, v32
	;; [unrolled: 1-line block ×8, first 2 shown]
	v_fma_f16 v11, v11, s14, v36
	v_fma_f16 v24, v24, s14, v20
	;; [unrolled: 1-line block ×4, first 2 shown]
	v_fma_f16 v37, v38, s5, -v37
	v_fma_f16 v44, v43, s5, -v44
	;; [unrolled: 1-line block ×4, first 2 shown]
	v_fma_f16 v38, v28, s15, v47
	v_fma_f16 v43, v10, s15, v54
	v_pack_b32_f16 v6, v6, v29
	v_pack_b32_f16 v4, v4, v7
	v_fma_f16 v26, v26, s4, -v47
	v_fma_f16 v9, v9, s4, -v54
	;; [unrolled: 1-line block ×4, first 2 shown]
	v_add_f16_e32 v22, v22, v11
	v_add_f16_e32 v31, v31, v24
	;; [unrolled: 1-line block ×6, first 2 shown]
	v_fma_f16 v27, v30, s12, v38
	v_fma_f16 v32, v8, s12, v43
	ds_write_b32 v62, v6 offset:576
	v_pack_b32_f16 v6, v45, v46
	ds_write_b32 v62, v4 offset:2880
	v_pack_b32_f16 v4, v21, v23
	v_fma_f16 v26, v30, s12, v26
	v_fma_f16 v9, v8, s12, v9
	;; [unrolled: 1-line block ×4, first 2 shown]
	v_add_f16_e32 v10, v32, v22
	v_sub_f16_e32 v30, v31, v27
	v_pack_b32_f16 v19, v35, v19
	ds_write_b32 v62, v6 offset:1152
	v_pack_b32_f16 v6, v52, v53
	v_pack_b32_f16 v5, v5, v25
	ds_write_b32 v62, v4 offset:3456
	v_pack_b32_f16 v4, v36, v20
	v_add_f16_e32 v38, v8, v11
	v_sub_f16_e32 v43, v24, v28
	ds_write_b32 v62, v6 offset:1728
	ds_write_b32 v62, v5 offset:2304
	ds_write2_b32 v62, v19, v4 offset1:56
	v_pack_b32_f16 v4, v10, v30
	v_sub_f16_e32 v47, v37, v9
	v_add_f16_e32 v54, v26, v44
	ds_write_b32 v62, v4 offset:800
	v_pack_b32_f16 v4, v38, v43
	v_add_f16_e32 v9, v9, v37
	v_sub_f16_e32 v26, v44, v26
	ds_write_b32 v62, v4 offset:1376
	v_pack_b32_f16 v4, v47, v54
	v_sub_f16_e32 v8, v11, v8
	v_add_f16_e32 v11, v28, v24
	ds_write_b32 v62, v4 offset:1952
	v_pack_b32_f16 v4, v9, v26
	v_sub_f16_e32 v22, v22, v32
	v_add_f16_e32 v24, v27, v31
	ds_write_b32 v62, v4 offset:2528
	v_pack_b32_f16 v4, v8, v11
	ds_write_b32 v62, v4 offset:3104
	v_pack_b32_f16 v4, v22, v24
	ds_write_b32 v62, v4 offset:3680
	s_and_saveexec_b64 s[0:1], vcc
	s_cbranch_execz .LBB0_9
; %bb.8:
	v_mul_f16_sdwa v8, v2, v51 dst_sel:DWORD dst_unused:UNUSED_PAD src0_sel:WORD_1 src1_sel:DWORD
	v_mul_f16_sdwa v4, v0, v50 dst_sel:DWORD dst_unused:UNUSED_PAD src0_sel:WORD_1 src1_sel:DWORD
	v_fma_f16 v8, v2, v16, v8
	v_mul_f16_sdwa v11, v1, v49 dst_sel:DWORD dst_unused:UNUSED_PAD src0_sel:WORD_1 src1_sel:DWORD
	v_mul_f16_sdwa v16, v2, v16 dst_sel:DWORD dst_unused:UNUSED_PAD src0_sel:WORD_1 src1_sel:DWORD
	v_fma_f16 v4, v0, v14, v4
	v_mul_f16_sdwa v5, v18, v42 dst_sel:DWORD dst_unused:UNUSED_PAD src0_sel:WORD_1 src1_sel:DWORD
	v_mul_f16_sdwa v7, v3, v40 dst_sel:DWORD dst_unused:UNUSED_PAD src0_sel:WORD_1 src1_sel:DWORD
	v_fma_f16 v11, v1, v15, v11
	v_mul_f16_sdwa v19, v17, v39 dst_sel:DWORD dst_unused:UNUSED_PAD src0_sel:WORD_1 src1_sel:DWORD
	v_mul_f16_sdwa v23, v18, v41 dst_sel:DWORD dst_unused:UNUSED_PAD src0_sel:WORD_1 src1_sel:DWORD
	;; [unrolled: 1-line block ×3, first 2 shown]
	v_fma_f16 v2, v2, v51, -v16
	v_mul_f16_sdwa v16, v3, v33 dst_sel:DWORD dst_unused:UNUSED_PAD src0_sel:WORD_1 src1_sel:DWORD
	v_mul_f16_sdwa v24, v17, v34 dst_sel:DWORD dst_unused:UNUSED_PAD src0_sel:WORD_1 src1_sel:DWORD
	;; [unrolled: 1-line block ×3, first 2 shown]
	v_fma_f16 v5, v18, v41, v5
	v_fma_f16 v7, v3, v33, v7
	v_fma_f16 v19, v17, v34, v19
	v_fma_f16 v18, v18, v42, -v23
	v_fma_f16 v0, v0, v50, -v14
	;; [unrolled: 1-line block ×5, first 2 shown]
	v_add_f16_e32 v14, v18, v0
	v_add_f16_e32 v16, v3, v2
	v_add_f16_e32 v15, v17, v1
	v_sub_f16_e32 v0, v0, v18
	v_sub_f16_e32 v2, v3, v2
	;; [unrolled: 1-line block ×6, first 2 shown]
	v_add_f16_e32 v4, v5, v4
	v_add_f16_e32 v5, v7, v8
	;; [unrolled: 1-line block ×3, first 2 shown]
	v_sub_f16_e32 v3, v0, v2
	v_sub_f16_e32 v17, v2, v1
	v_add_f16_e32 v2, v2, v1
	v_sub_f16_e32 v10, v6, v9
	v_sub_f16_e32 v21, v9, v20
	v_add_f16_e32 v9, v9, v20
	v_add_f16_e32 v26, v15, v14
	;; [unrolled: 1-line block ×4, first 2 shown]
	v_sub_f16_e32 v0, v1, v0
	v_add_f16_e32 v9, v9, v6
	v_sub_f16_e32 v23, v14, v16
	v_sub_f16_e32 v24, v16, v15
	v_add_f16_e32 v16, v16, v26
	v_sub_f16_e32 v7, v4, v5
	v_sub_f16_e32 v11, v5, v8
	v_add_f16_e32 v5, v5, v28
	v_mul_f16_e32 v17, 0x3846, v17
	v_sub_f16_e32 v6, v20, v6
	v_mul_f16_e32 v1, 0xbb00, v0
	v_mul_f16_e32 v21, 0x3846, v21
	;; [unrolled: 1-line block ×4, first 2 shown]
	v_add_f16_e32 v26, v48, v16
	v_mul_f16_e32 v7, 0x3a52, v7
	v_mul_f16_e32 v19, 0x2b26, v11
	v_add_f16_e32 v13, v13, v5
	v_fma_f16 v18, v3, s15, v17
	v_mul_f16_e32 v20, 0xbb00, v6
	v_sub_f16_e32 v14, v15, v14
	v_sub_f16_e32 v4, v8, v4
	v_fma_f16 v1, v3, s7, -v1
	v_fma_f16 v0, v0, s4, -v17
	v_fma_f16 v22, v10, s15, v21
	v_fma_f16 v24, v24, s13, v23
	v_fma_f16 v16, v16, s14, v26
	v_fma_f16 v11, v11, s13, v7
	v_fma_f16 v5, v5, s14, v13
	v_fma_f16 v18, v2, s12, v18
	v_fma_f16 v10, v10, s7, -v20
	v_fma_f16 v15, v14, s6, -v23
	;; [unrolled: 1-line block ×3, first 2 shown]
	v_fma_f16 v1, v2, s12, v1
	v_fma_f16 v8, v14, s5, -v25
	v_fma_f16 v6, v6, s4, -v21
	v_fma_f16 v0, v2, s12, v0
	v_fma_f16 v2, v4, s5, -v19
	v_fma_f16 v22, v9, s12, v22
	v_add_f16_e32 v24, v24, v16
	v_add_f16_e32 v11, v11, v5
	v_fma_f16 v10, v9, s12, v10
	v_add_f16_e32 v15, v15, v16
	v_add_f16_e32 v7, v7, v5
	;; [unrolled: 1-line block ×3, first 2 shown]
	v_fma_f16 v6, v9, s12, v6
	v_add_f16_e32 v2, v2, v5
	v_sub_f16_e32 v3, v7, v1
	v_sub_f16_e32 v9, v8, v6
	v_add_f16_e32 v4, v0, v2
	v_add_f16_e32 v5, v6, v8
	v_sub_f16_e32 v0, v2, v0
	v_sub_f16_e32 v2, v15, v10
	v_add_f16_e32 v1, v1, v7
	v_sub_f16_e32 v6, v24, v22
	v_add_f16_e32 v7, v18, v11
	v_add_f16_e32 v20, v10, v15
	v_pack_b32_f16 v8, v13, v26
	v_pack_b32_f16 v6, v7, v6
	v_add_u32_e32 v7, 0x100, v62
	v_pack_b32_f16 v1, v1, v2
	v_pack_b32_f16 v0, v0, v5
	v_add_u32_e32 v2, 0x600, v62
	v_add_f16_e32 v27, v22, v24
	v_sub_f16_e32 v28, v11, v18
	ds_write2_b32 v7, v8, v6 offset0:48 offset1:192
	ds_write2_b32 v2, v1, v0 offset0:16 offset1:160
	v_pack_b32_f16 v0, v4, v9
	v_pack_b32_f16 v1, v3, v20
	v_add_u32_e32 v2, 0xa00, v62
	ds_write2_b32 v2, v0, v1 offset0:48 offset1:192
	v_pack_b32_f16 v0, v28, v27
	ds_write_b32 v62, v0 offset:3904
.LBB0_9:
	s_or_b64 exec, exec, s[0:1]
	s_waitcnt lgkmcnt(0)
	; wave barrier
	s_waitcnt lgkmcnt(0)
	ds_read2_b32 v[5:6], v62 offset1:56
	s_mov_b32 s4, 0x10410410
	s_mov_b32 s5, 0x3f504104
	v_mad_u64_u32 v[3:4], s[0:1], s10, v12, 0
	s_waitcnt lgkmcnt(0)
	v_lshrrev_b32_e32 v9, 16, v5
	v_mul_f16_sdwa v0, v76, v9 dst_sel:DWORD dst_unused:UNUSED_PAD src0_sel:WORD_1 src1_sel:DWORD
	v_fma_f16 v0, v76, v5, v0
	v_cvt_f32_f16_e32 v0, v0
	v_mov_b32_e32 v2, v4
	v_mad_u64_u32 v[7:8], s[0:1], s11, v12, v[2:3]
	v_cvt_f64_f32_e32 v[0:1], v0
	s_movk_i32 s6, 0x1ff
	s_movk_i32 s7, 0xffe
	v_mov_b32_e32 v4, v7
	v_mul_f64 v[0:1], v[0:1], s[4:5]
	v_mul_f16_sdwa v5, v76, v5 dst_sel:DWORD dst_unused:UNUSED_PAD src0_sel:WORD_1 src1_sel:DWORD
	v_fma_f16 v5, v76, v9, -v5
	v_cvt_f32_f16_e32 v5, v5
	s_movk_i32 s10, 0x40f
	s_mov_b32 s11, 0x8000
	v_lshlrev_b64 v[3:4], 2, v[3:4]
	s_mul_i32 s13, s8, 0xfffff900
	v_and_or_b32 v0, v1, s6, v0
	v_cmp_ne_u32_e32 vcc, 0, v0
	v_lshrrev_b32_e32 v2, 8, v1
	v_bfe_u32 v7, v1, 20, 11
	v_cndmask_b32_e64 v0, 0, 1, vcc
	v_sub_u32_e32 v8, 0x3f1, v7
	v_and_or_b32 v0, v2, s7, v0
	v_or_b32_e32 v2, 0x1000, v0
	v_med3_i32 v8, v8, 0, 13
	v_lshrrev_b32_e32 v10, v8, v2
	v_lshlrev_b32_e32 v8, v8, v10
	v_cmp_ne_u32_e32 vcc, v8, v2
	v_cndmask_b32_e64 v2, 0, 1, vcc
	v_or_b32_e32 v2, v10, v2
	v_add_u32_e32 v10, 0xfffffc10, v7
	v_lshl_or_b32 v7, v10, 12, v0
	v_cmp_gt_i32_e32 vcc, 1, v10
	v_cndmask_b32_e32 v2, v7, v2, vcc
	v_and_b32_e32 v7, 7, v2
	v_cmp_lt_i32_e32 vcc, 5, v7
	v_cmp_eq_u32_e64 s[0:1], 3, v7
	v_cvt_f64_f32_e32 v[7:8], v5
	v_lshrrev_b32_e32 v2, 2, v2
	s_or_b64 vcc, s[0:1], vcc
	v_addc_co_u32_e32 v9, vcc, 0, v2, vcc
	v_mul_f64 v[7:8], v[7:8], s[4:5]
	v_mov_b32_e32 v2, 0x7c00
	v_cmp_gt_i32_e32 vcc, 31, v10
	v_cndmask_b32_e32 v5, v2, v9, vcc
	v_cmp_ne_u32_e32 vcc, 0, v0
	v_cndmask_b32_e64 v0, 0, 1, vcc
	v_lshl_or_b32 v0, v0, 9, v2
	v_cmp_eq_u32_e32 vcc, s10, v10
	v_cndmask_b32_e32 v0, v5, v0, vcc
	v_lshrrev_b32_e32 v1, 16, v1
	v_and_or_b32 v10, v1, s11, v0
	v_and_or_b32 v0, v8, s6, v7
	v_cmp_ne_u32_e32 vcc, 0, v0
	v_cndmask_b32_e64 v0, 0, 1, vcc
	v_lshrrev_b32_e32 v1, 8, v8
	v_bfe_u32 v5, v8, 20, 11
	v_and_or_b32 v0, v1, s7, v0
	v_sub_u32_e32 v7, 0x3f1, v5
	v_or_b32_e32 v1, 0x1000, v0
	v_med3_i32 v7, v7, 0, 13
	v_lshrrev_b32_e32 v9, v7, v1
	v_lshlrev_b32_e32 v7, v7, v9
	v_cmp_ne_u32_e32 vcc, v7, v1
	v_cndmask_b32_e64 v1, 0, 1, vcc
	v_add_u32_e32 v5, 0xfffffc10, v5
	v_or_b32_e32 v1, v9, v1
	v_lshl_or_b32 v7, v5, 12, v0
	v_cmp_gt_i32_e32 vcc, 1, v5
	v_cndmask_b32_e32 v1, v7, v1, vcc
	v_and_b32_e32 v7, 7, v1
	v_cmp_lt_i32_e32 vcc, 5, v7
	v_cmp_eq_u32_e64 s[0:1], 3, v7
	v_lshrrev_b32_e32 v1, 2, v1
	s_or_b64 vcc, s[0:1], vcc
	v_addc_co_u32_e32 v1, vcc, 0, v1, vcc
	v_cmp_gt_i32_e32 vcc, 31, v5
	v_cndmask_b32_e32 v1, v2, v1, vcc
	v_cmp_ne_u32_e32 vcc, 0, v0
	v_cndmask_b32_e64 v0, 0, 1, vcc
	v_lshl_or_b32 v0, v0, 9, v2
	v_cmp_eq_u32_e32 vcc, s10, v5
	v_add_u32_e32 v5, 0x400, v62
	v_cndmask_b32_e32 v9, v1, v0, vcc
	ds_read2_b32 v[0:1], v5 offset0:192 offset1:248
	v_lshrrev_b32_e32 v11, 16, v8
	v_mad_u64_u32 v[7:8], s[0:1], s8, v75, 0
	v_and_or_b32 v11, v11, s11, v9
	s_waitcnt lgkmcnt(0)
	v_lshrrev_b32_e32 v12, 16, v1
	v_mad_u64_u32 v[8:9], s[0:1], s9, v75, v[8:9]
	v_mul_f16_sdwa v9, v74, v12 dst_sel:DWORD dst_unused:UNUSED_PAD src0_sel:WORD_1 src1_sel:DWORD
	v_fma_f16 v9, v74, v1, v9
	v_cvt_f32_f16_e32 v9, v9
	v_and_b32_e32 v13, 0xffff, v10
	v_lshl_or_b32 v11, v11, 16, v13
	v_mov_b32_e32 v13, s3
	v_cvt_f64_f32_e32 v[9:10], v9
	v_add_co_u32_e32 v3, vcc, s2, v3
	v_lshlrev_b64 v[7:8], 2, v[7:8]
	v_mul_f64 v[9:10], v[9:10], s[4:5]
	v_addc_co_u32_e32 v4, vcc, v13, v4, vcc
	v_add_co_u32_e32 v7, vcc, v3, v7
	v_addc_co_u32_e32 v8, vcc, v4, v8, vcc
	global_store_dword v[7:8], v11, off
	v_and_or_b32 v9, v10, s6, v9
	v_cmp_ne_u32_e32 vcc, 0, v9
	v_cndmask_b32_e64 v9, 0, 1, vcc
	v_lshrrev_b32_e32 v11, 8, v10
	v_bfe_u32 v13, v10, 20, 11
	v_and_or_b32 v9, v11, s7, v9
	v_sub_u32_e32 v14, 0x3f1, v13
	v_or_b32_e32 v11, 0x1000, v9
	v_med3_i32 v14, v14, 0, 13
	v_lshrrev_b32_e32 v15, v14, v11
	v_lshlrev_b32_e32 v14, v14, v15
	v_mul_f16_sdwa v1, v74, v1 dst_sel:DWORD dst_unused:UNUSED_PAD src0_sel:WORD_1 src1_sel:DWORD
	v_cmp_ne_u32_e32 vcc, v14, v11
	v_fma_f16 v1, v74, v12, -v1
	v_cndmask_b32_e64 v11, 0, 1, vcc
	v_add_u32_e32 v13, 0xfffffc10, v13
	v_cvt_f32_f16_e32 v1, v1
	v_or_b32_e32 v11, v15, v11
	v_lshl_or_b32 v14, v13, 12, v9
	v_cmp_gt_i32_e32 vcc, 1, v13
	v_cndmask_b32_e32 v11, v14, v11, vcc
	v_and_b32_e32 v14, 7, v11
	v_cmp_lt_i32_e32 vcc, 5, v14
	v_cmp_eq_u32_e64 s[0:1], 3, v14
	v_lshrrev_b32_e32 v14, 2, v11
	v_cvt_f64_f32_e32 v[11:12], v1
	s_or_b64 vcc, s[0:1], vcc
	v_addc_co_u32_e32 v1, vcc, 0, v14, vcc
	v_mul_f64 v[11:12], v[11:12], s[4:5]
	v_cmp_gt_i32_e32 vcc, 31, v13
	v_cndmask_b32_e32 v1, v2, v1, vcc
	v_cmp_ne_u32_e32 vcc, 0, v9
	v_cndmask_b32_e64 v9, 0, 1, vcc
	v_lshl_or_b32 v9, v9, 9, v2
	v_cmp_eq_u32_e32 vcc, s10, v13
	v_cndmask_b32_e32 v1, v1, v9, vcc
	v_lshrrev_b32_e32 v9, 16, v10
	v_and_or_b32 v1, v9, s11, v1
	v_and_or_b32 v9, v12, s6, v11
	v_cmp_ne_u32_e32 vcc, 0, v9
	v_cndmask_b32_e64 v9, 0, 1, vcc
	v_lshrrev_b32_e32 v10, 8, v12
	v_bfe_u32 v11, v12, 20, 11
	v_and_or_b32 v9, v10, s7, v9
	v_sub_u32_e32 v13, 0x3f1, v11
	v_or_b32_e32 v10, 0x1000, v9
	v_med3_i32 v13, v13, 0, 13
	v_lshrrev_b32_e32 v14, v13, v10
	v_lshlrev_b32_e32 v13, v13, v14
	v_cmp_ne_u32_e32 vcc, v13, v10
	v_cndmask_b32_e64 v10, 0, 1, vcc
	v_add_u32_e32 v11, 0xfffffc10, v11
	v_or_b32_e32 v10, v14, v10
	v_lshl_or_b32 v13, v11, 12, v9
	v_cmp_gt_i32_e32 vcc, 1, v11
	v_cndmask_b32_e32 v10, v13, v10, vcc
	v_and_b32_e32 v13, 7, v10
	v_cmp_lt_i32_e32 vcc, 5, v13
	v_cmp_eq_u32_e64 s[0:1], 3, v13
	v_lshrrev_b32_e32 v10, 2, v10
	s_or_b64 vcc, s[0:1], vcc
	v_addc_co_u32_e32 v10, vcc, 0, v10, vcc
	v_cmp_gt_i32_e32 vcc, 31, v11
	v_cndmask_b32_e32 v10, v2, v10, vcc
	v_cmp_ne_u32_e32 vcc, 0, v9
	v_cndmask_b32_e64 v9, 0, 1, vcc
	v_lshl_or_b32 v9, v9, 9, v2
	v_cmp_eq_u32_e32 vcc, s10, v11
	v_lshrrev_b32_e32 v11, 16, v6
	v_cndmask_b32_e32 v9, v10, v9, vcc
	v_lshrrev_b32_e32 v10, 16, v12
	v_mul_f16_sdwa v12, v73, v11 dst_sel:DWORD dst_unused:UNUSED_PAD src0_sel:WORD_1 src1_sel:DWORD
	v_fma_f16 v12, v73, v6, v12
	v_cvt_f32_f16_e32 v12, v12
	v_and_or_b32 v9, v10, s11, v9
	v_and_b32_e32 v1, 0xffff, v1
	v_lshl_or_b32 v1, v9, 16, v1
	v_cvt_f64_f32_e32 v[9:10], v12
	s_mul_i32 s0, s9, 0x7e0
	s_mul_hi_u32 s2, s8, 0x7e0
	s_add_i32 s2, s2, s0
	v_mul_f64 v[9:10], v[9:10], s[4:5]
	s_mul_i32 s3, s8, 0x7e0
	v_mov_b32_e32 v12, s2
	v_add_co_u32_e32 v7, vcc, s3, v7
	v_addc_co_u32_e32 v8, vcc, v8, v12, vcc
	global_store_dword v[7:8], v1, off
	v_and_or_b32 v1, v10, s6, v9
	v_cmp_ne_u32_e32 vcc, 0, v1
	v_cndmask_b32_e64 v1, 0, 1, vcc
	v_lshrrev_b32_e32 v9, 8, v10
	v_bfe_u32 v12, v10, 20, 11
	v_and_or_b32 v1, v9, s7, v1
	v_sub_u32_e32 v13, 0x3f1, v12
	v_or_b32_e32 v9, 0x1000, v1
	v_med3_i32 v13, v13, 0, 13
	v_lshrrev_b32_e32 v14, v13, v9
	v_lshlrev_b32_e32 v13, v13, v14
	v_mul_f16_sdwa v6, v73, v6 dst_sel:DWORD dst_unused:UNUSED_PAD src0_sel:WORD_1 src1_sel:DWORD
	v_cmp_ne_u32_e32 vcc, v13, v9
	v_fma_f16 v6, v73, v11, -v6
	v_cndmask_b32_e64 v9, 0, 1, vcc
	v_add_u32_e32 v13, 0xfffffc10, v12
	v_cvt_f32_f16_e32 v6, v6
	v_or_b32_e32 v9, v14, v9
	v_lshl_or_b32 v12, v13, 12, v1
	v_cmp_gt_i32_e32 vcc, 1, v13
	v_cndmask_b32_e32 v9, v12, v9, vcc
	v_and_b32_e32 v12, 7, v9
	v_cmp_lt_i32_e32 vcc, 5, v12
	v_cmp_eq_u32_e64 s[0:1], 3, v12
	v_cvt_f64_f32_e32 v[11:12], v6
	v_lshrrev_b32_e32 v9, 2, v9
	s_or_b64 vcc, s[0:1], vcc
	v_addc_co_u32_e32 v6, vcc, 0, v9, vcc
	v_mul_f64 v[11:12], v[11:12], s[4:5]
	v_cmp_gt_i32_e32 vcc, 31, v13
	v_cndmask_b32_e32 v6, v2, v6, vcc
	v_cmp_ne_u32_e32 vcc, 0, v1
	v_cndmask_b32_e64 v1, 0, 1, vcc
	v_lshl_or_b32 v1, v1, 9, v2
	v_cmp_eq_u32_e32 vcc, s10, v13
	v_cndmask_b32_e32 v1, v6, v1, vcc
	v_lshrrev_b32_e32 v6, 16, v10
	v_and_or_b32 v1, v6, s11, v1
	v_and_or_b32 v6, v12, s6, v11
	v_cmp_ne_u32_e32 vcc, 0, v6
	v_cndmask_b32_e64 v6, 0, 1, vcc
	v_lshrrev_b32_e32 v9, 8, v12
	v_bfe_u32 v10, v12, 20, 11
	v_and_or_b32 v6, v9, s7, v6
	v_sub_u32_e32 v11, 0x3f1, v10
	v_or_b32_e32 v9, 0x1000, v6
	v_med3_i32 v11, v11, 0, 13
	v_lshrrev_b32_e32 v13, v11, v9
	v_lshlrev_b32_e32 v11, v11, v13
	v_cmp_ne_u32_e32 vcc, v11, v9
	v_cndmask_b32_e64 v9, 0, 1, vcc
	v_add_u32_e32 v11, 0xfffffc10, v10
	v_or_b32_e32 v9, v13, v9
	v_lshl_or_b32 v10, v11, 12, v6
	v_cmp_gt_i32_e32 vcc, 1, v11
	v_cndmask_b32_e32 v9, v10, v9, vcc
	v_and_b32_e32 v10, 7, v9
	v_cmp_lt_i32_e32 vcc, 5, v10
	v_cmp_eq_u32_e64 s[0:1], 3, v10
	v_lshrrev_b32_e32 v9, 2, v9
	s_or_b64 vcc, s[0:1], vcc
	v_addc_co_u32_e32 v9, vcc, 0, v9, vcc
	v_cmp_gt_i32_e32 vcc, 31, v11
	v_add_u32_e32 v15, 0x800, v62
	v_cndmask_b32_e32 v13, v2, v9, vcc
	ds_read2_b32 v[9:10], v15 offset0:48 offset1:104
	v_cmp_ne_u32_e32 vcc, 0, v6
	v_cndmask_b32_e64 v6, 0, 1, vcc
	v_lshl_or_b32 v6, v6, 9, v2
	v_cmp_eq_u32_e32 vcc, s10, v11
	v_cndmask_b32_e32 v6, v13, v6, vcc
	v_lshrrev_b32_e32 v11, 16, v12
	s_waitcnt lgkmcnt(0)
	v_lshrrev_b32_e32 v13, 16, v9
	v_and_or_b32 v6, v11, s11, v6
	v_mul_f16_sdwa v11, v72, v13 dst_sel:DWORD dst_unused:UNUSED_PAD src0_sel:WORD_1 src1_sel:DWORD
	v_fma_f16 v11, v72, v9, v11
	v_cvt_f32_f16_e32 v11, v11
	s_mul_hi_u32 s1, s8, 0xfffff900
	s_mul_i32 s0, s9, 0xfffff900
	s_sub_i32 s12, s1, s8
	v_cvt_f64_f32_e32 v[11:12], v11
	v_and_b32_e32 v1, 0xffff, v1
	s_add_i32 s12, s12, s0
	v_lshl_or_b32 v1, v6, 16, v1
	v_mul_f64 v[11:12], v[11:12], s[4:5]
	v_mov_b32_e32 v14, s12
	v_add_co_u32_e32 v6, vcc, s13, v7
	v_addc_co_u32_e32 v7, vcc, v8, v14, vcc
	global_store_dword v[6:7], v1, off
	v_mul_f16_sdwa v9, v72, v9 dst_sel:DWORD dst_unused:UNUSED_PAD src0_sel:WORD_1 src1_sel:DWORD
	v_and_or_b32 v1, v12, s6, v11
	v_cmp_ne_u32_e32 vcc, 0, v1
	v_cndmask_b32_e64 v1, 0, 1, vcc
	v_lshrrev_b32_e32 v8, 8, v12
	v_bfe_u32 v11, v12, 20, 11
	v_and_or_b32 v1, v8, s7, v1
	v_sub_u32_e32 v14, 0x3f1, v11
	v_or_b32_e32 v8, 0x1000, v1
	v_med3_i32 v14, v14, 0, 13
	v_lshrrev_b32_e32 v16, v14, v8
	v_lshlrev_b32_e32 v14, v14, v16
	v_fma_f16 v9, v72, v13, -v9
	v_cmp_ne_u32_e32 vcc, v14, v8
	v_cvt_f32_f16_e32 v9, v9
	v_cndmask_b32_e64 v8, 0, 1, vcc
	v_add_u32_e32 v11, 0xfffffc10, v11
	v_or_b32_e32 v8, v16, v8
	v_lshl_or_b32 v14, v11, 12, v1
	v_cmp_gt_i32_e32 vcc, 1, v11
	v_cndmask_b32_e32 v8, v14, v8, vcc
	v_and_b32_e32 v14, 7, v8
	v_lshrrev_b32_e32 v13, 2, v8
	v_cvt_f64_f32_e32 v[8:9], v9
	v_cmp_lt_i32_e32 vcc, 5, v14
	v_cmp_eq_u32_e64 s[0:1], 3, v14
	s_or_b64 vcc, s[0:1], vcc
	v_mul_f64 v[8:9], v[8:9], s[4:5]
	v_addc_co_u32_e32 v13, vcc, 0, v13, vcc
	v_cmp_gt_i32_e32 vcc, 31, v11
	v_cndmask_b32_e32 v13, v2, v13, vcc
	v_cmp_ne_u32_e32 vcc, 0, v1
	v_cndmask_b32_e64 v1, 0, 1, vcc
	v_lshl_or_b32 v1, v1, 9, v2
	v_cmp_eq_u32_e32 vcc, s10, v11
	v_and_or_b32 v8, v9, s6, v8
	v_cndmask_b32_e32 v1, v13, v1, vcc
	v_lshrrev_b32_e32 v11, 16, v12
	v_cmp_ne_u32_e32 vcc, 0, v8
	v_and_or_b32 v1, v11, s11, v1
	v_cndmask_b32_e64 v8, 0, 1, vcc
	v_lshrrev_b32_e32 v11, 8, v9
	v_bfe_u32 v12, v9, 20, 11
	v_and_or_b32 v8, v11, s7, v8
	v_sub_u32_e32 v13, 0x3f1, v12
	v_or_b32_e32 v11, 0x1000, v8
	v_med3_i32 v13, v13, 0, 13
	v_lshrrev_b32_e32 v14, v13, v11
	v_lshlrev_b32_e32 v13, v13, v14
	v_cmp_ne_u32_e32 vcc, v13, v11
	v_cndmask_b32_e64 v11, 0, 1, vcc
	v_add_u32_e32 v13, 0xfffffc10, v12
	v_or_b32_e32 v11, v14, v11
	v_lshl_or_b32 v12, v13, 12, v8
	v_cmp_gt_i32_e32 vcc, 1, v13
	v_cndmask_b32_e32 v11, v12, v11, vcc
	v_and_b32_e32 v12, 7, v11
	v_cmp_lt_i32_e32 vcc, 5, v12
	v_cmp_eq_u32_e64 s[0:1], 3, v12
	v_lshrrev_b32_e32 v11, 2, v11
	s_or_b64 vcc, s[0:1], vcc
	v_addc_co_u32_e32 v14, vcc, 0, v11, vcc
	ds_read2_b32 v[11:12], v62 offset0:112 offset1:168
	v_cmp_gt_i32_e32 vcc, 31, v13
	v_cndmask_b32_e32 v14, v2, v14, vcc
	v_cmp_ne_u32_e32 vcc, 0, v8
	v_cndmask_b32_e64 v8, 0, 1, vcc
	s_waitcnt lgkmcnt(0)
	v_lshrrev_b32_e32 v16, 16, v11
	v_mul_f16_sdwa v17, v71, v16 dst_sel:DWORD dst_unused:UNUSED_PAD src0_sel:WORD_1 src1_sel:DWORD
	v_fma_f16 v17, v71, v11, v17
	v_cvt_f32_f16_e32 v17, v17
	v_lshl_or_b32 v8, v8, 9, v2
	v_cmp_eq_u32_e32 vcc, s10, v13
	v_cndmask_b32_e32 v8, v14, v8, vcc
	v_cvt_f64_f32_e32 v[13:14], v17
	v_lshrrev_b32_e32 v9, 16, v9
	v_and_or_b32 v17, v9, s11, v8
	v_and_b32_e32 v1, 0xffff, v1
	v_mul_f64 v[8:9], v[13:14], s[4:5]
	v_mov_b32_e32 v13, s2
	v_add_co_u32_e32 v6, vcc, s3, v6
	v_lshl_or_b32 v1, v17, 16, v1
	v_addc_co_u32_e32 v7, vcc, v7, v13, vcc
	global_store_dword v[6:7], v1, off
	v_and_or_b32 v1, v9, s6, v8
	v_cmp_ne_u32_e32 vcc, 0, v1
	v_cndmask_b32_e64 v1, 0, 1, vcc
	v_lshrrev_b32_e32 v8, 8, v9
	v_bfe_u32 v13, v9, 20, 11
	v_and_or_b32 v1, v8, s7, v1
	v_sub_u32_e32 v14, 0x3f1, v13
	v_or_b32_e32 v8, 0x1000, v1
	v_med3_i32 v14, v14, 0, 13
	v_lshrrev_b32_e32 v17, v14, v8
	v_lshlrev_b32_e32 v14, v14, v17
	v_cmp_ne_u32_e32 vcc, v14, v8
	v_mul_f16_sdwa v11, v71, v11 dst_sel:DWORD dst_unused:UNUSED_PAD src0_sel:WORD_1 src1_sel:DWORD
	v_cndmask_b32_e64 v8, 0, 1, vcc
	v_fma_f16 v11, v71, v16, -v11
	v_or_b32_e32 v8, v17, v8
	v_add_u32_e32 v17, 0xfffffc10, v13
	v_cvt_f32_f16_e32 v11, v11
	v_lshl_or_b32 v13, v17, 12, v1
	v_cmp_gt_i32_e32 vcc, 1, v17
	v_cndmask_b32_e32 v8, v13, v8, vcc
	v_and_b32_e32 v13, 7, v8
	v_cmp_lt_i32_e32 vcc, 5, v13
	v_cmp_eq_u32_e64 s[0:1], 3, v13
	v_cvt_f64_f32_e32 v[13:14], v11
	v_lshrrev_b32_e32 v8, 2, v8
	s_or_b64 vcc, s[0:1], vcc
	v_addc_co_u32_e32 v8, vcc, 0, v8, vcc
	v_mul_f64 v[13:14], v[13:14], s[4:5]
	v_cmp_gt_i32_e32 vcc, 31, v17
	v_cndmask_b32_e32 v8, v2, v8, vcc
	v_cmp_ne_u32_e32 vcc, 0, v1
	v_cndmask_b32_e64 v1, 0, 1, vcc
	v_lshl_or_b32 v1, v1, 9, v2
	v_cmp_eq_u32_e32 vcc, s10, v17
	v_cndmask_b32_e32 v1, v8, v1, vcc
	v_lshrrev_b32_e32 v8, 16, v9
	v_and_or_b32 v1, v8, s11, v1
	v_and_or_b32 v8, v14, s6, v13
	v_cmp_ne_u32_e32 vcc, 0, v8
	v_cndmask_b32_e64 v8, 0, 1, vcc
	v_lshrrev_b32_e32 v9, 8, v14
	v_bfe_u32 v11, v14, 20, 11
	v_and_or_b32 v8, v9, s7, v8
	v_sub_u32_e32 v13, 0x3f1, v11
	v_or_b32_e32 v9, 0x1000, v8
	v_med3_i32 v13, v13, 0, 13
	v_lshrrev_b32_e32 v16, v13, v9
	v_lshlrev_b32_e32 v13, v13, v16
	v_cmp_ne_u32_e32 vcc, v13, v9
	v_cndmask_b32_e64 v9, 0, 1, vcc
	v_add_u32_e32 v11, 0xfffffc10, v11
	v_or_b32_e32 v9, v16, v9
	v_lshl_or_b32 v13, v11, 12, v8
	v_cmp_gt_i32_e32 vcc, 1, v11
	v_cndmask_b32_e32 v9, v13, v9, vcc
	v_and_b32_e32 v13, 7, v9
	v_cmp_lt_i32_e32 vcc, 5, v13
	v_cmp_eq_u32_e64 s[0:1], 3, v13
	v_lshrrev_b32_e32 v13, 16, v10
	v_lshrrev_b32_e32 v9, 2, v9
	s_or_b64 vcc, s[0:1], vcc
	v_mul_f16_sdwa v16, v69, v13 dst_sel:DWORD dst_unused:UNUSED_PAD src0_sel:WORD_1 src1_sel:DWORD
	v_addc_co_u32_e32 v9, vcc, 0, v9, vcc
	v_fma_f16 v16, v69, v10, v16
	v_cmp_gt_i32_e32 vcc, 31, v11
	v_cvt_f32_f16_e32 v16, v16
	v_cndmask_b32_e32 v9, v2, v9, vcc
	v_cmp_ne_u32_e32 vcc, 0, v8
	v_cndmask_b32_e64 v8, 0, 1, vcc
	v_lshl_or_b32 v8, v8, 9, v2
	v_cmp_eq_u32_e32 vcc, s10, v11
	v_cndmask_b32_e32 v11, v9, v8, vcc
	v_cvt_f64_f32_e32 v[8:9], v16
	v_lshrrev_b32_e32 v14, 16, v14
	v_and_or_b32 v11, v14, s11, v11
	v_and_b32_e32 v1, 0xffff, v1
	v_mul_f64 v[8:9], v[8:9], s[4:5]
	v_lshl_or_b32 v1, v11, 16, v1
	v_mov_b32_e32 v11, s12
	v_add_co_u32_e32 v6, vcc, s13, v6
	v_addc_co_u32_e32 v7, vcc, v7, v11, vcc
	global_store_dword v[6:7], v1, off
	v_and_or_b32 v1, v9, s6, v8
	v_cmp_ne_u32_e32 vcc, 0, v1
	v_cndmask_b32_e64 v1, 0, 1, vcc
	v_lshrrev_b32_e32 v8, 8, v9
	v_bfe_u32 v11, v9, 20, 11
	v_and_or_b32 v1, v8, s7, v1
	v_sub_u32_e32 v14, 0x3f1, v11
	v_or_b32_e32 v8, 0x1000, v1
	v_med3_i32 v14, v14, 0, 13
	v_lshrrev_b32_e32 v16, v14, v8
	v_lshlrev_b32_e32 v14, v14, v16
	v_mul_f16_sdwa v10, v69, v10 dst_sel:DWORD dst_unused:UNUSED_PAD src0_sel:WORD_1 src1_sel:DWORD
	v_cmp_ne_u32_e32 vcc, v14, v8
	v_fma_f16 v10, v69, v13, -v10
	v_cndmask_b32_e64 v8, 0, 1, vcc
	v_add_u32_e32 v14, 0xfffffc10, v11
	v_cvt_f32_f16_e32 v10, v10
	v_or_b32_e32 v8, v16, v8
	v_lshl_or_b32 v11, v14, 12, v1
	v_cmp_gt_i32_e32 vcc, 1, v14
	v_cndmask_b32_e32 v8, v11, v8, vcc
	v_and_b32_e32 v11, 7, v8
	v_cmp_lt_i32_e32 vcc, 5, v11
	v_cmp_eq_u32_e64 s[0:1], 3, v11
	v_cvt_f64_f32_e32 v[10:11], v10
	v_lshrrev_b32_e32 v8, 2, v8
	s_or_b64 vcc, s[0:1], vcc
	v_addc_co_u32_e32 v8, vcc, 0, v8, vcc
	v_mul_f64 v[10:11], v[10:11], s[4:5]
	v_cmp_gt_i32_e32 vcc, 31, v14
	v_cndmask_b32_e32 v8, v2, v8, vcc
	v_cmp_ne_u32_e32 vcc, 0, v1
	v_cndmask_b32_e64 v1, 0, 1, vcc
	v_lshl_or_b32 v1, v1, 9, v2
	v_cmp_eq_u32_e32 vcc, s10, v14
	v_cndmask_b32_e32 v1, v8, v1, vcc
	v_lshrrev_b32_e32 v8, 16, v9
	v_and_or_b32 v1, v8, s11, v1
	v_and_or_b32 v8, v11, s6, v10
	v_cmp_ne_u32_e32 vcc, 0, v8
	v_cndmask_b32_e64 v8, 0, 1, vcc
	v_lshrrev_b32_e32 v9, 8, v11
	v_bfe_u32 v10, v11, 20, 11
	v_and_or_b32 v8, v9, s7, v8
	v_sub_u32_e32 v13, 0x3f1, v10
	v_or_b32_e32 v9, 0x1000, v8
	v_med3_i32 v13, v13, 0, 13
	v_lshrrev_b32_e32 v14, v13, v9
	v_lshlrev_b32_e32 v13, v13, v14
	v_cmp_ne_u32_e32 vcc, v13, v9
	v_cndmask_b32_e64 v9, 0, 1, vcc
	v_add_u32_e32 v10, 0xfffffc10, v10
	v_or_b32_e32 v9, v14, v9
	v_lshl_or_b32 v13, v10, 12, v8
	v_cmp_gt_i32_e32 vcc, 1, v10
	v_cndmask_b32_e32 v9, v13, v9, vcc
	v_and_b32_e32 v13, 7, v9
	v_cmp_lt_i32_e32 vcc, 5, v13
	v_cmp_eq_u32_e64 s[0:1], 3, v13
	v_lshrrev_b32_e32 v13, 16, v12
	v_lshrrev_b32_e32 v9, 2, v9
	s_or_b64 vcc, s[0:1], vcc
	v_mul_f16_sdwa v14, v70, v13 dst_sel:DWORD dst_unused:UNUSED_PAD src0_sel:WORD_1 src1_sel:DWORD
	v_addc_co_u32_e32 v9, vcc, 0, v9, vcc
	v_fma_f16 v14, v70, v12, v14
	v_cmp_gt_i32_e32 vcc, 31, v10
	v_cvt_f32_f16_e32 v14, v14
	v_cndmask_b32_e32 v9, v2, v9, vcc
	v_cmp_ne_u32_e32 vcc, 0, v8
	v_cndmask_b32_e64 v8, 0, 1, vcc
	v_lshl_or_b32 v8, v8, 9, v2
	v_cmp_eq_u32_e32 vcc, s10, v10
	v_cndmask_b32_e32 v10, v9, v8, vcc
	v_cvt_f64_f32_e32 v[8:9], v14
	v_lshrrev_b32_e32 v11, 16, v11
	v_and_or_b32 v10, v11, s11, v10
	v_and_b32_e32 v1, 0xffff, v1
	v_mul_f64 v[8:9], v[8:9], s[4:5]
	v_lshl_or_b32 v1, v10, 16, v1
	v_mov_b32_e32 v10, s2
	v_add_co_u32_e32 v6, vcc, s3, v6
	v_addc_co_u32_e32 v7, vcc, v7, v10, vcc
	global_store_dword v[6:7], v1, off
	v_and_or_b32 v1, v9, s6, v8
	v_cmp_ne_u32_e32 vcc, 0, v1
	v_cndmask_b32_e64 v1, 0, 1, vcc
	v_lshrrev_b32_e32 v8, 8, v9
	v_bfe_u32 v10, v9, 20, 11
	v_and_or_b32 v1, v8, s7, v1
	v_sub_u32_e32 v11, 0x3f1, v10
	v_or_b32_e32 v8, 0x1000, v1
	v_med3_i32 v11, v11, 0, 13
	v_lshrrev_b32_e32 v14, v11, v8
	v_lshlrev_b32_e32 v11, v11, v14
	v_cmp_ne_u32_e32 vcc, v11, v8
	v_mul_f16_sdwa v11, v70, v12 dst_sel:DWORD dst_unused:UNUSED_PAD src0_sel:WORD_1 src1_sel:DWORD
	v_cndmask_b32_e64 v8, 0, 1, vcc
	v_fma_f16 v11, v70, v13, -v11
	v_or_b32_e32 v8, v14, v8
	v_add_u32_e32 v14, 0xfffffc10, v10
	v_cvt_f32_f16_e32 v11, v11
	v_lshl_or_b32 v10, v14, 12, v1
	v_cmp_gt_i32_e32 vcc, 1, v14
	v_cndmask_b32_e32 v8, v10, v8, vcc
	v_and_b32_e32 v10, 7, v8
	v_cmp_lt_i32_e32 vcc, 5, v10
	v_cmp_eq_u32_e64 s[0:1], 3, v10
	v_cvt_f64_f32_e32 v[10:11], v11
	v_lshrrev_b32_e32 v8, 2, v8
	s_or_b64 vcc, s[0:1], vcc
	v_addc_co_u32_e32 v8, vcc, 0, v8, vcc
	v_mul_f64 v[10:11], v[10:11], s[4:5]
	v_cmp_gt_i32_e32 vcc, 31, v14
	v_cndmask_b32_e32 v8, v2, v8, vcc
	v_cmp_ne_u32_e32 vcc, 0, v1
	v_cndmask_b32_e64 v1, 0, 1, vcc
	v_lshl_or_b32 v1, v1, 9, v2
	v_cmp_eq_u32_e32 vcc, s10, v14
	v_cndmask_b32_e32 v1, v8, v1, vcc
	v_lshrrev_b32_e32 v8, 16, v9
	v_and_or_b32 v1, v8, s11, v1
	v_and_or_b32 v8, v11, s6, v10
	v_cmp_ne_u32_e32 vcc, 0, v8
	v_cndmask_b32_e64 v8, 0, 1, vcc
	v_lshrrev_b32_e32 v9, 8, v11
	v_and_or_b32 v10, v9, s7, v8
	v_bfe_u32 v9, v11, 20, 11
	v_sub_u32_e32 v12, 0x3f1, v9
	v_or_b32_e32 v8, 0x1000, v10
	v_med3_i32 v12, v12, 0, 13
	v_lshrrev_b32_e32 v13, v12, v8
	v_lshlrev_b32_e32 v12, v12, v13
	v_cmp_ne_u32_e32 vcc, v12, v8
	v_cndmask_b32_e64 v8, 0, 1, vcc
	v_add_u32_e32 v12, 0xfffffc10, v9
	v_or_b32_e32 v8, v13, v8
	v_lshl_or_b32 v9, v12, 12, v10
	v_cmp_gt_i32_e32 vcc, 1, v12
	v_cndmask_b32_e32 v8, v9, v8, vcc
	v_and_b32_e32 v9, 7, v8
	v_cmp_lt_i32_e32 vcc, 5, v9
	v_cmp_eq_u32_e64 s[0:1], 3, v9
	v_lshrrev_b32_e32 v8, 2, v8
	s_or_b64 vcc, s[0:1], vcc
	v_addc_co_u32_e32 v13, vcc, 0, v8, vcc
	ds_read2_b32 v[8:9], v15 offset0:160 offset1:216
	v_cmp_gt_i32_e32 vcc, 31, v12
	v_cndmask_b32_e32 v13, v2, v13, vcc
	v_cmp_ne_u32_e32 vcc, 0, v10
	v_cndmask_b32_e64 v10, 0, 1, vcc
	s_waitcnt lgkmcnt(0)
	v_lshrrev_b32_e32 v14, 16, v8
	v_mul_f16_sdwa v15, v68, v14 dst_sel:DWORD dst_unused:UNUSED_PAD src0_sel:WORD_1 src1_sel:DWORD
	v_fma_f16 v15, v68, v8, v15
	v_cvt_f32_f16_e32 v15, v15
	v_lshl_or_b32 v10, v10, 9, v2
	v_cmp_eq_u32_e32 vcc, s10, v12
	v_cndmask_b32_e32 v10, v13, v10, vcc
	v_cvt_f64_f32_e32 v[12:13], v15
	v_lshrrev_b32_e32 v11, 16, v11
	v_and_or_b32 v15, v11, s11, v10
	v_and_b32_e32 v1, 0xffff, v1
	v_mul_f64 v[10:11], v[12:13], s[4:5]
	v_mov_b32_e32 v12, s12
	v_add_co_u32_e32 v6, vcc, s13, v6
	v_lshl_or_b32 v1, v15, 16, v1
	v_addc_co_u32_e32 v7, vcc, v7, v12, vcc
	global_store_dword v[6:7], v1, off
	v_and_or_b32 v1, v11, s6, v10
	v_cmp_ne_u32_e32 vcc, 0, v1
	v_cndmask_b32_e64 v1, 0, 1, vcc
	v_lshrrev_b32_e32 v10, 8, v11
	v_bfe_u32 v12, v11, 20, 11
	v_and_or_b32 v1, v10, s7, v1
	v_sub_u32_e32 v13, 0x3f1, v12
	v_or_b32_e32 v10, 0x1000, v1
	v_med3_i32 v13, v13, 0, 13
	v_lshrrev_b32_e32 v15, v13, v10
	v_lshlrev_b32_e32 v13, v13, v15
	v_cmp_ne_u32_e32 vcc, v13, v10
	v_mul_f16_sdwa v8, v68, v8 dst_sel:DWORD dst_unused:UNUSED_PAD src0_sel:WORD_1 src1_sel:DWORD
	v_cndmask_b32_e64 v10, 0, 1, vcc
	v_fma_f16 v8, v68, v14, -v8
	v_or_b32_e32 v10, v15, v10
	v_add_u32_e32 v15, 0xfffffc10, v12
	v_cvt_f32_f16_e32 v8, v8
	v_lshl_or_b32 v12, v15, 12, v1
	v_cmp_gt_i32_e32 vcc, 1, v15
	v_cndmask_b32_e32 v10, v12, v10, vcc
	v_and_b32_e32 v12, 7, v10
	v_cmp_lt_i32_e32 vcc, 5, v12
	v_cmp_eq_u32_e64 s[0:1], 3, v12
	v_cvt_f64_f32_e32 v[12:13], v8
	v_lshrrev_b32_e32 v10, 2, v10
	s_or_b64 vcc, s[0:1], vcc
	v_addc_co_u32_e32 v8, vcc, 0, v10, vcc
	v_mul_f64 v[12:13], v[12:13], s[4:5]
	v_cmp_gt_i32_e32 vcc, 31, v15
	v_cndmask_b32_e32 v8, v2, v8, vcc
	v_cmp_ne_u32_e32 vcc, 0, v1
	v_cndmask_b32_e64 v1, 0, 1, vcc
	v_lshl_or_b32 v1, v1, 9, v2
	v_cmp_eq_u32_e32 vcc, s10, v15
	v_cndmask_b32_e32 v1, v8, v1, vcc
	v_lshrrev_b32_e32 v8, 16, v11
	v_and_or_b32 v1, v8, s11, v1
	v_and_or_b32 v8, v13, s6, v12
	v_cmp_ne_u32_e32 vcc, 0, v8
	v_cndmask_b32_e64 v8, 0, 1, vcc
	v_lshrrev_b32_e32 v10, 8, v13
	v_bfe_u32 v11, v13, 20, 11
	v_and_or_b32 v8, v10, s7, v8
	v_sub_u32_e32 v12, 0x3f1, v11
	v_or_b32_e32 v10, 0x1000, v8
	v_med3_i32 v12, v12, 0, 13
	v_lshrrev_b32_e32 v14, v12, v10
	v_lshlrev_b32_e32 v12, v12, v14
	v_cmp_ne_u32_e32 vcc, v12, v10
	v_cndmask_b32_e64 v10, 0, 1, vcc
	v_add_u32_e32 v12, 0xfffffc10, v11
	v_or_b32_e32 v10, v14, v10
	v_lshl_or_b32 v11, v12, 12, v8
	v_cmp_gt_i32_e32 vcc, 1, v12
	v_cndmask_b32_e32 v10, v11, v10, vcc
	v_and_b32_e32 v11, 7, v10
	v_cmp_lt_i32_e32 vcc, 5, v11
	v_cmp_eq_u32_e64 s[0:1], 3, v11
	v_lshrrev_b32_e32 v10, 2, v10
	s_or_b64 vcc, s[0:1], vcc
	v_addc_co_u32_e32 v14, vcc, 0, v10, vcc
	v_add_u32_e32 v10, 0x200, v62
	ds_read2_b32 v[10:11], v10 offset0:96 offset1:152
	v_cmp_gt_i32_e32 vcc, 31, v12
	v_cndmask_b32_e32 v14, v2, v14, vcc
	v_cmp_ne_u32_e32 vcc, 0, v8
	v_cndmask_b32_e64 v8, 0, 1, vcc
	s_waitcnt lgkmcnt(0)
	v_lshrrev_b32_e32 v16, 16, v10
	v_mul_f16_sdwa v15, v67, v16 dst_sel:DWORD dst_unused:UNUSED_PAD src0_sel:WORD_1 src1_sel:DWORD
	v_fma_f16 v15, v67, v10, v15
	v_cvt_f32_f16_e32 v15, v15
	v_lshl_or_b32 v8, v8, 9, v2
	v_cmp_eq_u32_e32 vcc, s10, v12
	v_cndmask_b32_e32 v8, v14, v8, vcc
	v_cvt_f64_f32_e32 v[14:15], v15
	v_lshrrev_b32_e32 v12, 16, v13
	v_and_or_b32 v8, v12, s11, v8
	v_and_b32_e32 v1, 0xffff, v1
	v_mul_f64 v[12:13], v[14:15], s[4:5]
	v_lshl_or_b32 v1, v8, 16, v1
	v_mov_b32_e32 v8, s2
	v_add_co_u32_e32 v6, vcc, s3, v6
	v_addc_co_u32_e32 v7, vcc, v7, v8, vcc
	global_store_dword v[6:7], v1, off
	v_and_or_b32 v1, v13, s6, v12
	v_cmp_ne_u32_e32 vcc, 0, v1
	v_cndmask_b32_e64 v1, 0, 1, vcc
	v_lshrrev_b32_e32 v8, 8, v13
	v_bfe_u32 v12, v13, 20, 11
	v_and_or_b32 v1, v8, s7, v1
	v_sub_u32_e32 v14, 0x3f1, v12
	v_or_b32_e32 v8, 0x1000, v1
	v_med3_i32 v14, v14, 0, 13
	v_lshrrev_b32_e32 v15, v14, v8
	v_lshlrev_b32_e32 v14, v14, v15
	v_mul_f16_sdwa v10, v67, v10 dst_sel:DWORD dst_unused:UNUSED_PAD src0_sel:WORD_1 src1_sel:DWORD
	v_cmp_ne_u32_e32 vcc, v14, v8
	v_fma_f16 v10, v67, v16, -v10
	v_cndmask_b32_e64 v8, 0, 1, vcc
	v_add_u32_e32 v12, 0xfffffc10, v12
	v_cvt_f32_f16_e32 v10, v10
	v_or_b32_e32 v8, v15, v8
	v_lshl_or_b32 v14, v12, 12, v1
	v_cmp_gt_i32_e32 vcc, 1, v12
	v_cndmask_b32_e32 v8, v14, v8, vcc
	v_and_b32_e32 v14, 7, v8
	v_cmp_lt_i32_e32 vcc, 5, v14
	v_cmp_eq_u32_e64 s[0:1], 3, v14
	v_cvt_f64_f32_e32 v[14:15], v10
	v_lshrrev_b32_e32 v8, 2, v8
	s_or_b64 vcc, s[0:1], vcc
	v_addc_co_u32_e32 v8, vcc, 0, v8, vcc
	v_mul_f64 v[14:15], v[14:15], s[4:5]
	v_cmp_gt_i32_e32 vcc, 31, v12
	v_cndmask_b32_e32 v8, v2, v8, vcc
	v_cmp_ne_u32_e32 vcc, 0, v1
	v_cndmask_b32_e64 v1, 0, 1, vcc
	v_lshl_or_b32 v1, v1, 9, v2
	v_cmp_eq_u32_e32 vcc, s10, v12
	v_cndmask_b32_e32 v1, v8, v1, vcc
	v_lshrrev_b32_e32 v8, 16, v13
	v_and_or_b32 v1, v8, s11, v1
	v_and_or_b32 v8, v15, s6, v14
	v_cmp_ne_u32_e32 vcc, 0, v8
	v_cndmask_b32_e64 v8, 0, 1, vcc
	v_lshrrev_b32_e32 v10, 8, v15
	v_bfe_u32 v12, v15, 20, 11
	v_and_or_b32 v8, v10, s7, v8
	v_sub_u32_e32 v13, 0x3f1, v12
	v_or_b32_e32 v10, 0x1000, v8
	v_med3_i32 v13, v13, 0, 13
	v_lshrrev_b32_e32 v14, v13, v10
	v_lshlrev_b32_e32 v13, v13, v14
	v_cmp_ne_u32_e32 vcc, v13, v10
	v_cndmask_b32_e64 v10, 0, 1, vcc
	v_add_u32_e32 v12, 0xfffffc10, v12
	v_or_b32_e32 v10, v14, v10
	v_lshl_or_b32 v13, v12, 12, v8
	v_cmp_gt_i32_e32 vcc, 1, v12
	v_cndmask_b32_e32 v10, v13, v10, vcc
	v_and_b32_e32 v13, 7, v10
	v_lshrrev_b32_e32 v14, 16, v9
	v_cmp_lt_i32_e32 vcc, 5, v13
	v_cmp_eq_u32_e64 s[0:1], 3, v13
	v_mul_f16_sdwa v13, v66, v14 dst_sel:DWORD dst_unused:UNUSED_PAD src0_sel:WORD_1 src1_sel:DWORD
	v_fma_f16 v13, v66, v9, v13
	v_lshrrev_b32_e32 v10, 2, v10
	s_or_b64 vcc, s[0:1], vcc
	v_cvt_f32_f16_e32 v13, v13
	v_addc_co_u32_e32 v10, vcc, 0, v10, vcc
	v_cmp_gt_i32_e32 vcc, 31, v12
	v_cndmask_b32_e32 v10, v2, v10, vcc
	v_cmp_ne_u32_e32 vcc, 0, v8
	v_cndmask_b32_e64 v8, 0, 1, vcc
	v_cmp_eq_u32_e32 vcc, s10, v12
	v_cvt_f64_f32_e32 v[12:13], v13
	v_lshl_or_b32 v8, v8, 9, v2
	v_cndmask_b32_e32 v8, v10, v8, vcc
	v_lshrrev_b32_e32 v10, 16, v15
	v_mul_f64 v[12:13], v[12:13], s[4:5]
	v_and_or_b32 v8, v10, s11, v8
	v_and_b32_e32 v1, 0xffff, v1
	v_lshl_or_b32 v1, v8, 16, v1
	v_mov_b32_e32 v8, s12
	v_add_co_u32_e32 v6, vcc, s13, v6
	v_addc_co_u32_e32 v7, vcc, v7, v8, vcc
	global_store_dword v[6:7], v1, off
	v_and_or_b32 v1, v13, s6, v12
	v_cmp_ne_u32_e32 vcc, 0, v1
	v_cndmask_b32_e64 v1, 0, 1, vcc
	v_lshrrev_b32_e32 v8, 8, v13
	v_bfe_u32 v10, v13, 20, 11
	v_and_or_b32 v1, v8, s7, v1
	v_sub_u32_e32 v12, 0x3f1, v10
	v_or_b32_e32 v8, 0x1000, v1
	v_med3_i32 v12, v12, 0, 13
	v_lshrrev_b32_e32 v15, v12, v8
	v_lshlrev_b32_e32 v12, v12, v15
	v_mul_f16_sdwa v9, v66, v9 dst_sel:DWORD dst_unused:UNUSED_PAD src0_sel:WORD_1 src1_sel:DWORD
	v_cmp_ne_u32_e32 vcc, v12, v8
	v_fma_f16 v9, v66, v14, -v9
	v_cndmask_b32_e64 v8, 0, 1, vcc
	v_add_u32_e32 v10, 0xfffffc10, v10
	v_cvt_f32_f16_e32 v9, v9
	v_or_b32_e32 v8, v15, v8
	v_lshl_or_b32 v12, v10, 12, v1
	v_cmp_gt_i32_e32 vcc, 1, v10
	v_cndmask_b32_e32 v8, v12, v8, vcc
	v_and_b32_e32 v12, 7, v8
	v_cmp_lt_i32_e32 vcc, 5, v12
	v_cmp_eq_u32_e64 s[0:1], 3, v12
	v_lshrrev_b32_e32 v12, 2, v8
	v_cvt_f64_f32_e32 v[8:9], v9
	s_or_b64 vcc, s[0:1], vcc
	v_addc_co_u32_e32 v12, vcc, 0, v12, vcc
	v_mul_f64 v[8:9], v[8:9], s[4:5]
	v_cmp_gt_i32_e32 vcc, 31, v10
	v_cndmask_b32_e32 v12, v2, v12, vcc
	v_cmp_ne_u32_e32 vcc, 0, v1
	v_cndmask_b32_e64 v1, 0, 1, vcc
	v_lshl_or_b32 v1, v1, 9, v2
	v_cmp_eq_u32_e32 vcc, s10, v10
	v_cndmask_b32_e32 v1, v12, v1, vcc
	v_and_or_b32 v8, v9, s6, v8
	v_lshrrev_b32_e32 v10, 16, v13
	v_cmp_ne_u32_e32 vcc, 0, v8
	v_and_or_b32 v1, v10, s11, v1
	v_cndmask_b32_e64 v8, 0, 1, vcc
	v_lshrrev_b32_e32 v10, 8, v9
	v_bfe_u32 v12, v9, 20, 11
	v_and_or_b32 v8, v10, s7, v8
	v_sub_u32_e32 v13, 0x3f1, v12
	v_or_b32_e32 v10, 0x1000, v8
	v_med3_i32 v13, v13, 0, 13
	v_lshrrev_b32_e32 v14, v13, v10
	v_lshlrev_b32_e32 v13, v13, v14
	v_cmp_ne_u32_e32 vcc, v13, v10
	v_cndmask_b32_e64 v10, 0, 1, vcc
	v_add_u32_e32 v12, 0xfffffc10, v12
	v_or_b32_e32 v10, v14, v10
	v_lshl_or_b32 v13, v12, 12, v8
	v_cmp_gt_i32_e32 vcc, 1, v12
	v_cndmask_b32_e32 v10, v13, v10, vcc
	v_and_b32_e32 v13, 7, v10
	v_lshrrev_b32_e32 v14, 16, v11
	v_cmp_lt_i32_e32 vcc, 5, v13
	v_cmp_eq_u32_e64 s[0:1], 3, v13
	v_mul_f16_sdwa v13, v65, v14 dst_sel:DWORD dst_unused:UNUSED_PAD src0_sel:WORD_1 src1_sel:DWORD
	v_fma_f16 v13, v65, v11, v13
	v_lshrrev_b32_e32 v10, 2, v10
	s_or_b64 vcc, s[0:1], vcc
	v_cvt_f32_f16_e32 v13, v13
	v_addc_co_u32_e32 v10, vcc, 0, v10, vcc
	v_cmp_gt_i32_e32 vcc, 31, v12
	v_cndmask_b32_e32 v10, v2, v10, vcc
	v_cmp_ne_u32_e32 vcc, 0, v8
	v_cndmask_b32_e64 v8, 0, 1, vcc
	v_cmp_eq_u32_e32 vcc, s10, v12
	v_cvt_f64_f32_e32 v[12:13], v13
	v_lshl_or_b32 v8, v8, 9, v2
	v_cndmask_b32_e32 v8, v10, v8, vcc
	v_lshrrev_b32_e32 v9, 16, v9
	v_and_or_b32 v10, v9, s11, v8
	v_mul_f64 v[8:9], v[12:13], s[4:5]
	v_and_b32_e32 v1, 0xffff, v1
	v_lshl_or_b32 v1, v10, 16, v1
	v_mov_b32_e32 v10, s2
	v_add_co_u32_e32 v6, vcc, s3, v6
	v_addc_co_u32_e32 v7, vcc, v7, v10, vcc
	global_store_dword v[6:7], v1, off
	v_and_or_b32 v1, v9, s6, v8
	v_cmp_ne_u32_e32 vcc, 0, v1
	v_cndmask_b32_e64 v1, 0, 1, vcc
	v_lshrrev_b32_e32 v8, 8, v9
	v_bfe_u32 v10, v9, 20, 11
	v_and_or_b32 v1, v8, s7, v1
	v_sub_u32_e32 v12, 0x3f1, v10
	v_or_b32_e32 v8, 0x1000, v1
	v_med3_i32 v12, v12, 0, 13
	v_lshrrev_b32_e32 v13, v12, v8
	v_lshlrev_b32_e32 v12, v12, v13
	v_mul_f16_sdwa v11, v65, v11 dst_sel:DWORD dst_unused:UNUSED_PAD src0_sel:WORD_1 src1_sel:DWORD
	v_cmp_ne_u32_e32 vcc, v12, v8
	v_fma_f16 v11, v65, v14, -v11
	v_cndmask_b32_e64 v8, 0, 1, vcc
	v_add_u32_e32 v12, 0xfffffc10, v10
	v_cvt_f32_f16_e32 v11, v11
	v_or_b32_e32 v8, v13, v8
	v_lshl_or_b32 v10, v12, 12, v1
	v_cmp_gt_i32_e32 vcc, 1, v12
	v_cndmask_b32_e32 v8, v10, v8, vcc
	v_and_b32_e32 v10, 7, v8
	v_cmp_lt_i32_e32 vcc, 5, v10
	v_cmp_eq_u32_e64 s[0:1], 3, v10
	v_cvt_f64_f32_e32 v[10:11], v11
	v_lshrrev_b32_e32 v8, 2, v8
	s_or_b64 vcc, s[0:1], vcc
	v_addc_co_u32_e32 v8, vcc, 0, v8, vcc
	v_mul_f64 v[10:11], v[10:11], s[4:5]
	v_cmp_gt_i32_e32 vcc, 31, v12
	v_cndmask_b32_e32 v8, v2, v8, vcc
	v_cmp_ne_u32_e32 vcc, 0, v1
	v_cndmask_b32_e64 v1, 0, 1, vcc
	v_lshl_or_b32 v1, v1, 9, v2
	v_cmp_eq_u32_e32 vcc, s10, v12
	v_cndmask_b32_e32 v1, v8, v1, vcc
	v_lshrrev_b32_e32 v8, 16, v9
	v_and_or_b32 v1, v8, s11, v1
	v_and_or_b32 v8, v11, s6, v10
	v_cmp_ne_u32_e32 vcc, 0, v8
	v_cndmask_b32_e64 v8, 0, 1, vcc
	v_lshrrev_b32_e32 v9, 8, v11
	v_and_or_b32 v10, v9, s7, v8
	v_bfe_u32 v9, v11, 20, 11
	v_sub_u32_e32 v12, 0x3f1, v9
	v_or_b32_e32 v8, 0x1000, v10
	v_med3_i32 v12, v12, 0, 13
	v_lshrrev_b32_e32 v13, v12, v8
	v_lshlrev_b32_e32 v12, v12, v13
	v_cmp_ne_u32_e32 vcc, v12, v8
	v_cndmask_b32_e64 v8, 0, 1, vcc
	v_add_u32_e32 v12, 0xfffffc10, v9
	v_or_b32_e32 v8, v13, v8
	v_lshl_or_b32 v9, v12, 12, v10
	v_cmp_gt_i32_e32 vcc, 1, v12
	v_cndmask_b32_e32 v8, v9, v8, vcc
	v_and_b32_e32 v9, 7, v8
	v_cmp_lt_i32_e32 vcc, 5, v9
	v_cmp_eq_u32_e64 s[0:1], 3, v9
	v_lshrrev_b32_e32 v8, 2, v8
	s_or_b64 vcc, s[0:1], vcc
	v_add_u32_e32 v16, 0xc00, v62
	v_addc_co_u32_e32 v13, vcc, 0, v8, vcc
	ds_read2_b32 v[8:9], v16 offset0:16 offset1:72
	v_cmp_gt_i32_e32 vcc, 31, v12
	v_cndmask_b32_e32 v13, v2, v13, vcc
	v_cmp_ne_u32_e32 vcc, 0, v10
	v_cndmask_b32_e64 v10, 0, 1, vcc
	s_waitcnt lgkmcnt(0)
	v_lshrrev_b32_e32 v14, 16, v8
	v_mul_f16_sdwa v15, v64, v14 dst_sel:DWORD dst_unused:UNUSED_PAD src0_sel:WORD_1 src1_sel:DWORD
	v_fma_f16 v15, v64, v8, v15
	v_cvt_f32_f16_e32 v15, v15
	v_lshl_or_b32 v10, v10, 9, v2
	v_cmp_eq_u32_e32 vcc, s10, v12
	v_cndmask_b32_e32 v10, v13, v10, vcc
	v_cvt_f64_f32_e32 v[12:13], v15
	v_lshrrev_b32_e32 v11, 16, v11
	v_and_or_b32 v15, v11, s11, v10
	v_and_b32_e32 v1, 0xffff, v1
	v_mul_f64 v[10:11], v[12:13], s[4:5]
	v_mov_b32_e32 v12, s12
	v_add_co_u32_e32 v6, vcc, s13, v6
	v_lshl_or_b32 v1, v15, 16, v1
	v_addc_co_u32_e32 v7, vcc, v7, v12, vcc
	global_store_dword v[6:7], v1, off
	v_and_or_b32 v1, v11, s6, v10
	v_cmp_ne_u32_e32 vcc, 0, v1
	v_cndmask_b32_e64 v1, 0, 1, vcc
	v_lshrrev_b32_e32 v10, 8, v11
	v_bfe_u32 v12, v11, 20, 11
	v_and_or_b32 v1, v10, s7, v1
	v_sub_u32_e32 v13, 0x3f1, v12
	v_or_b32_e32 v10, 0x1000, v1
	v_med3_i32 v13, v13, 0, 13
	v_lshrrev_b32_e32 v15, v13, v10
	v_lshlrev_b32_e32 v13, v13, v15
	v_cmp_ne_u32_e32 vcc, v13, v10
	v_mul_f16_sdwa v8, v64, v8 dst_sel:DWORD dst_unused:UNUSED_PAD src0_sel:WORD_1 src1_sel:DWORD
	v_cndmask_b32_e64 v10, 0, 1, vcc
	v_fma_f16 v8, v64, v14, -v8
	v_or_b32_e32 v10, v15, v10
	v_add_u32_e32 v15, 0xfffffc10, v12
	v_cvt_f32_f16_e32 v8, v8
	v_lshl_or_b32 v12, v15, 12, v1
	v_cmp_gt_i32_e32 vcc, 1, v15
	v_cndmask_b32_e32 v10, v12, v10, vcc
	v_and_b32_e32 v12, 7, v10
	v_cmp_lt_i32_e32 vcc, 5, v12
	v_cmp_eq_u32_e64 s[0:1], 3, v12
	v_cvt_f64_f32_e32 v[12:13], v8
	v_lshrrev_b32_e32 v10, 2, v10
	s_or_b64 vcc, s[0:1], vcc
	v_addc_co_u32_e32 v8, vcc, 0, v10, vcc
	v_mul_f64 v[12:13], v[12:13], s[4:5]
	v_cmp_gt_i32_e32 vcc, 31, v15
	v_cndmask_b32_e32 v8, v2, v8, vcc
	v_cmp_ne_u32_e32 vcc, 0, v1
	v_cndmask_b32_e64 v1, 0, 1, vcc
	v_lshl_or_b32 v1, v1, 9, v2
	v_cmp_eq_u32_e32 vcc, s10, v15
	v_cndmask_b32_e32 v1, v8, v1, vcc
	v_lshrrev_b32_e32 v8, 16, v11
	v_and_or_b32 v1, v8, s11, v1
	v_and_or_b32 v8, v13, s6, v12
	v_cmp_ne_u32_e32 vcc, 0, v8
	v_cndmask_b32_e64 v8, 0, 1, vcc
	v_lshrrev_b32_e32 v10, 8, v13
	v_bfe_u32 v11, v13, 20, 11
	v_and_or_b32 v8, v10, s7, v8
	v_sub_u32_e32 v12, 0x3f1, v11
	v_or_b32_e32 v10, 0x1000, v8
	v_med3_i32 v12, v12, 0, 13
	v_lshrrev_b32_e32 v14, v12, v10
	v_lshlrev_b32_e32 v12, v12, v14
	v_cmp_ne_u32_e32 vcc, v12, v10
	v_cndmask_b32_e64 v10, 0, 1, vcc
	v_add_u32_e32 v12, 0xfffffc10, v11
	v_or_b32_e32 v10, v14, v10
	v_lshl_or_b32 v11, v12, 12, v8
	v_cmp_gt_i32_e32 vcc, 1, v12
	v_cndmask_b32_e32 v10, v11, v10, vcc
	v_and_b32_e32 v11, 7, v10
	v_cmp_lt_i32_e32 vcc, 5, v11
	v_cmp_eq_u32_e64 s[0:1], 3, v11
	v_lshrrev_b32_e32 v10, 2, v10
	s_or_b64 vcc, s[0:1], vcc
	v_addc_co_u32_e32 v14, vcc, 0, v10, vcc
	ds_read2_b32 v[10:11], v5 offset0:80 offset1:136
	v_cmp_gt_i32_e32 vcc, 31, v12
	v_cndmask_b32_e32 v5, v2, v14, vcc
	v_cmp_ne_u32_e32 vcc, 0, v8
	v_cndmask_b32_e64 v8, 0, 1, vcc
	s_waitcnt lgkmcnt(0)
	v_lshrrev_b32_e32 v17, 16, v10
	v_mul_f16_sdwa v14, v63, v17 dst_sel:DWORD dst_unused:UNUSED_PAD src0_sel:WORD_1 src1_sel:DWORD
	v_fma_f16 v14, v63, v10, v14
	v_cvt_f32_f16_e32 v14, v14
	v_lshl_or_b32 v8, v8, 9, v2
	v_cmp_eq_u32_e32 vcc, s10, v12
	v_cndmask_b32_e32 v5, v5, v8, vcc
	v_cvt_f64_f32_e32 v[14:15], v14
	v_lshrrev_b32_e32 v8, 16, v13
	v_and_or_b32 v5, v8, s11, v5
	v_and_b32_e32 v1, 0xffff, v1
	v_mul_f64 v[12:13], v[14:15], s[4:5]
	v_lshl_or_b32 v1, v5, 16, v1
	v_mov_b32_e32 v8, s2
	v_add_co_u32_e32 v5, vcc, s3, v6
	v_addc_co_u32_e32 v6, vcc, v7, v8, vcc
	global_store_dword v[5:6], v1, off
	v_and_or_b32 v1, v13, s6, v12
	v_cmp_ne_u32_e32 vcc, 0, v1
	v_cndmask_b32_e64 v1, 0, 1, vcc
	v_lshrrev_b32_e32 v7, 8, v13
	v_bfe_u32 v8, v13, 20, 11
	v_and_or_b32 v1, v7, s7, v1
	v_sub_u32_e32 v12, 0x3f1, v8
	v_or_b32_e32 v7, 0x1000, v1
	v_med3_i32 v12, v12, 0, 13
	v_lshrrev_b32_e32 v14, v12, v7
	v_lshlrev_b32_e32 v12, v12, v14
	v_mul_f16_sdwa v10, v63, v10 dst_sel:DWORD dst_unused:UNUSED_PAD src0_sel:WORD_1 src1_sel:DWORD
	v_cmp_ne_u32_e32 vcc, v12, v7
	v_fma_f16 v10, v63, v17, -v10
	v_cndmask_b32_e64 v7, 0, 1, vcc
	v_add_u32_e32 v12, 0xfffffc10, v8
	v_cvt_f32_f16_e32 v10, v10
	v_or_b32_e32 v7, v14, v7
	v_lshl_or_b32 v8, v12, 12, v1
	v_cmp_gt_i32_e32 vcc, 1, v12
	v_cndmask_b32_e32 v7, v8, v7, vcc
	v_and_b32_e32 v8, 7, v7
	v_cmp_lt_i32_e32 vcc, 5, v8
	v_cmp_eq_u32_e64 s[0:1], 3, v8
	v_lshrrev_b32_e32 v14, 2, v7
	v_cvt_f64_f32_e32 v[7:8], v10
	s_or_b64 vcc, s[0:1], vcc
	v_addc_co_u32_e32 v10, vcc, 0, v14, vcc
	v_mul_f64 v[7:8], v[7:8], s[4:5]
	v_cmp_gt_i32_e32 vcc, 31, v12
	v_cndmask_b32_e32 v10, v2, v10, vcc
	v_cmp_ne_u32_e32 vcc, 0, v1
	v_cndmask_b32_e64 v1, 0, 1, vcc
	v_lshl_or_b32 v1, v1, 9, v2
	v_cmp_eq_u32_e32 vcc, s10, v12
	v_cndmask_b32_e32 v1, v10, v1, vcc
	v_and_or_b32 v7, v8, s6, v7
	v_lshrrev_b32_e32 v10, 16, v13
	v_cmp_ne_u32_e32 vcc, 0, v7
	v_and_or_b32 v1, v10, s11, v1
	v_cndmask_b32_e64 v7, 0, 1, vcc
	v_lshrrev_b32_e32 v10, 8, v8
	v_bfe_u32 v12, v8, 20, 11
	v_and_or_b32 v7, v10, s7, v7
	v_sub_u32_e32 v13, 0x3f1, v12
	v_or_b32_e32 v10, 0x1000, v7
	v_med3_i32 v13, v13, 0, 13
	v_lshrrev_b32_e32 v14, v13, v10
	v_lshlrev_b32_e32 v13, v13, v14
	v_cmp_ne_u32_e32 vcc, v13, v10
	v_cndmask_b32_e64 v10, 0, 1, vcc
	v_add_u32_e32 v12, 0xfffffc10, v12
	v_or_b32_e32 v10, v14, v10
	v_lshl_or_b32 v13, v12, 12, v7
	v_cmp_gt_i32_e32 vcc, 1, v12
	v_cndmask_b32_e32 v10, v13, v10, vcc
	v_and_b32_e32 v13, 7, v10
	v_lshrrev_b32_e32 v14, 16, v9
	v_cmp_lt_i32_e32 vcc, 5, v13
	v_cmp_eq_u32_e64 s[0:1], 3, v13
	v_mul_f16_sdwa v13, v61, v14 dst_sel:DWORD dst_unused:UNUSED_PAD src0_sel:WORD_1 src1_sel:DWORD
	v_fma_f16 v13, v61, v9, v13
	v_lshrrev_b32_e32 v10, 2, v10
	s_or_b64 vcc, s[0:1], vcc
	v_cvt_f32_f16_e32 v13, v13
	v_addc_co_u32_e32 v10, vcc, 0, v10, vcc
	v_cmp_gt_i32_e32 vcc, 31, v12
	v_cndmask_b32_e32 v10, v2, v10, vcc
	v_cmp_ne_u32_e32 vcc, 0, v7
	v_cndmask_b32_e64 v7, 0, 1, vcc
	v_cmp_eq_u32_e32 vcc, s10, v12
	v_cvt_f64_f32_e32 v[12:13], v13
	v_lshl_or_b32 v7, v7, 9, v2
	v_cndmask_b32_e32 v7, v10, v7, vcc
	v_lshrrev_b32_e32 v8, 16, v8
	v_and_or_b32 v10, v8, s11, v7
	v_mul_f64 v[7:8], v[12:13], s[4:5]
	v_and_b32_e32 v1, 0xffff, v1
	v_lshl_or_b32 v1, v10, 16, v1
	v_mov_b32_e32 v10, s12
	v_add_co_u32_e32 v5, vcc, s13, v5
	v_addc_co_u32_e32 v6, vcc, v6, v10, vcc
	global_store_dword v[5:6], v1, off
	v_and_or_b32 v1, v8, s6, v7
	v_cmp_ne_u32_e32 vcc, 0, v1
	v_cndmask_b32_e64 v1, 0, 1, vcc
	v_lshrrev_b32_e32 v7, 8, v8
	v_bfe_u32 v10, v8, 20, 11
	v_and_or_b32 v1, v7, s7, v1
	v_sub_u32_e32 v12, 0x3f1, v10
	v_or_b32_e32 v7, 0x1000, v1
	v_med3_i32 v12, v12, 0, 13
	v_lshrrev_b32_e32 v13, v12, v7
	v_lshlrev_b32_e32 v12, v12, v13
	v_mul_f16_sdwa v9, v61, v9 dst_sel:DWORD dst_unused:UNUSED_PAD src0_sel:WORD_1 src1_sel:DWORD
	v_cmp_ne_u32_e32 vcc, v12, v7
	v_fma_f16 v9, v61, v14, -v9
	v_cndmask_b32_e64 v7, 0, 1, vcc
	v_add_u32_e32 v12, 0xfffffc10, v10
	v_cvt_f32_f16_e32 v9, v9
	v_or_b32_e32 v7, v13, v7
	v_lshl_or_b32 v10, v12, 12, v1
	v_cmp_gt_i32_e32 vcc, 1, v12
	v_cndmask_b32_e32 v7, v10, v7, vcc
	v_and_b32_e32 v10, 7, v7
	v_cmp_lt_i32_e32 vcc, 5, v10
	v_cmp_eq_u32_e64 s[0:1], 3, v10
	v_cvt_f64_f32_e32 v[9:10], v9
	v_lshrrev_b32_e32 v7, 2, v7
	s_or_b64 vcc, s[0:1], vcc
	v_addc_co_u32_e32 v7, vcc, 0, v7, vcc
	v_mul_f64 v[9:10], v[9:10], s[4:5]
	v_cmp_gt_i32_e32 vcc, 31, v12
	v_cndmask_b32_e32 v7, v2, v7, vcc
	v_cmp_ne_u32_e32 vcc, 0, v1
	v_cndmask_b32_e64 v1, 0, 1, vcc
	v_lshl_or_b32 v1, v1, 9, v2
	v_cmp_eq_u32_e32 vcc, s10, v12
	v_cndmask_b32_e32 v1, v7, v1, vcc
	v_lshrrev_b32_e32 v7, 16, v8
	v_and_or_b32 v1, v7, s11, v1
	v_and_or_b32 v7, v10, s6, v9
	v_cmp_ne_u32_e32 vcc, 0, v7
	v_cndmask_b32_e64 v7, 0, 1, vcc
	v_lshrrev_b32_e32 v8, 8, v10
	v_bfe_u32 v9, v10, 20, 11
	v_and_or_b32 v7, v8, s7, v7
	v_sub_u32_e32 v12, 0x3f1, v9
	v_or_b32_e32 v8, 0x1000, v7
	v_med3_i32 v12, v12, 0, 13
	v_lshrrev_b32_e32 v13, v12, v8
	v_lshlrev_b32_e32 v12, v12, v13
	v_cmp_ne_u32_e32 vcc, v12, v8
	v_cndmask_b32_e64 v8, 0, 1, vcc
	v_add_u32_e32 v9, 0xfffffc10, v9
	v_or_b32_e32 v8, v13, v8
	v_lshl_or_b32 v12, v9, 12, v7
	v_cmp_gt_i32_e32 vcc, 1, v9
	v_cndmask_b32_e32 v8, v12, v8, vcc
	v_and_b32_e32 v12, 7, v8
	v_cmp_lt_i32_e32 vcc, 5, v12
	v_cmp_eq_u32_e64 s[0:1], 3, v12
	v_lshrrev_b32_e32 v12, 16, v11
	v_lshrrev_b32_e32 v8, 2, v8
	s_or_b64 vcc, s[0:1], vcc
	v_mul_f16_sdwa v13, v59, v12 dst_sel:DWORD dst_unused:UNUSED_PAD src0_sel:WORD_1 src1_sel:DWORD
	v_addc_co_u32_e32 v8, vcc, 0, v8, vcc
	v_fma_f16 v13, v59, v11, v13
	v_cmp_gt_i32_e32 vcc, 31, v9
	v_cvt_f32_f16_e32 v13, v13
	v_cndmask_b32_e32 v8, v2, v8, vcc
	v_cmp_ne_u32_e32 vcc, 0, v7
	v_cndmask_b32_e64 v7, 0, 1, vcc
	v_lshl_or_b32 v7, v7, 9, v2
	v_cmp_eq_u32_e32 vcc, s10, v9
	v_cndmask_b32_e32 v9, v8, v7, vcc
	v_cvt_f64_f32_e32 v[7:8], v13
	v_lshrrev_b32_e32 v10, 16, v10
	v_and_or_b32 v9, v10, s11, v9
	v_and_b32_e32 v1, 0xffff, v1
	v_mul_f64 v[7:8], v[7:8], s[4:5]
	v_lshl_or_b32 v1, v9, 16, v1
	v_mov_b32_e32 v9, s2
	v_add_co_u32_e32 v5, vcc, s3, v5
	v_addc_co_u32_e32 v6, vcc, v6, v9, vcc
	global_store_dword v[5:6], v1, off
	v_and_or_b32 v1, v8, s6, v7
	v_cmp_ne_u32_e32 vcc, 0, v1
	v_cndmask_b32_e64 v1, 0, 1, vcc
	v_lshrrev_b32_e32 v7, 8, v8
	v_bfe_u32 v9, v8, 20, 11
	v_and_or_b32 v1, v7, s7, v1
	v_sub_u32_e32 v10, 0x3f1, v9
	v_or_b32_e32 v7, 0x1000, v1
	v_med3_i32 v10, v10, 0, 13
	v_lshrrev_b32_e32 v13, v10, v7
	v_lshlrev_b32_e32 v10, v10, v13
	v_cmp_ne_u32_e32 vcc, v10, v7
	v_mul_f16_sdwa v10, v59, v11 dst_sel:DWORD dst_unused:UNUSED_PAD src0_sel:WORD_1 src1_sel:DWORD
	v_cndmask_b32_e64 v7, 0, 1, vcc
	v_fma_f16 v10, v59, v12, -v10
	v_or_b32_e32 v7, v13, v7
	v_add_u32_e32 v13, 0xfffffc10, v9
	v_cvt_f32_f16_e32 v10, v10
	v_lshl_or_b32 v9, v13, 12, v1
	v_cmp_gt_i32_e32 vcc, 1, v13
	v_cndmask_b32_e32 v7, v9, v7, vcc
	v_and_b32_e32 v9, 7, v7
	v_cmp_lt_i32_e32 vcc, 5, v9
	v_cmp_eq_u32_e64 s[0:1], 3, v9
	v_cvt_f64_f32_e32 v[9:10], v10
	v_lshrrev_b32_e32 v7, 2, v7
	s_or_b64 vcc, s[0:1], vcc
	v_addc_co_u32_e32 v7, vcc, 0, v7, vcc
	v_mul_f64 v[9:10], v[9:10], s[4:5]
	v_cmp_gt_i32_e32 vcc, 31, v13
	v_cndmask_b32_e32 v7, v2, v7, vcc
	v_cmp_ne_u32_e32 vcc, 0, v1
	v_cndmask_b32_e64 v1, 0, 1, vcc
	v_lshl_or_b32 v1, v1, 9, v2
	v_cmp_eq_u32_e32 vcc, s10, v13
	v_cndmask_b32_e32 v1, v7, v1, vcc
	v_lshrrev_b32_e32 v7, 16, v8
	v_and_or_b32 v1, v7, s11, v1
	v_and_or_b32 v7, v10, s6, v9
	v_cmp_ne_u32_e32 vcc, 0, v7
	v_cndmask_b32_e64 v7, 0, 1, vcc
	v_lshrrev_b32_e32 v8, 8, v10
	v_and_or_b32 v9, v8, s7, v7
	v_bfe_u32 v8, v10, 20, 11
	v_sub_u32_e32 v11, 0x3f1, v8
	v_or_b32_e32 v7, 0x1000, v9
	v_med3_i32 v11, v11, 0, 13
	v_lshrrev_b32_e32 v12, v11, v7
	v_lshlrev_b32_e32 v11, v11, v12
	v_cmp_ne_u32_e32 vcc, v11, v7
	v_cndmask_b32_e64 v7, 0, 1, vcc
	v_add_u32_e32 v11, 0xfffffc10, v8
	v_or_b32_e32 v7, v12, v7
	v_lshl_or_b32 v8, v11, 12, v9
	v_cmp_gt_i32_e32 vcc, 1, v11
	v_cndmask_b32_e32 v7, v8, v7, vcc
	v_and_b32_e32 v8, 7, v7
	v_cmp_lt_i32_e32 vcc, 5, v8
	v_cmp_eq_u32_e64 s[0:1], 3, v8
	v_lshrrev_b32_e32 v7, 2, v7
	s_or_b64 vcc, s[0:1], vcc
	v_addc_co_u32_e32 v12, vcc, 0, v7, vcc
	ds_read2_b32 v[7:8], v16 offset0:128 offset1:184
	v_cmp_gt_i32_e32 vcc, 31, v11
	v_cndmask_b32_e32 v12, v2, v12, vcc
	v_cmp_ne_u32_e32 vcc, 0, v9
	v_cndmask_b32_e64 v9, 0, 1, vcc
	s_waitcnt lgkmcnt(0)
	v_lshrrev_b32_e32 v13, 16, v7
	v_mul_f16_sdwa v14, v60, v13 dst_sel:DWORD dst_unused:UNUSED_PAD src0_sel:WORD_1 src1_sel:DWORD
	v_fma_f16 v14, v60, v7, v14
	v_cvt_f32_f16_e32 v14, v14
	v_lshl_or_b32 v9, v9, 9, v2
	v_cmp_eq_u32_e32 vcc, s10, v11
	v_cndmask_b32_e32 v9, v12, v9, vcc
	v_cvt_f64_f32_e32 v[11:12], v14
	v_lshrrev_b32_e32 v10, 16, v10
	v_and_or_b32 v14, v10, s11, v9
	v_and_b32_e32 v1, 0xffff, v1
	v_mul_f64 v[9:10], v[11:12], s[4:5]
	v_mov_b32_e32 v11, s12
	v_add_co_u32_e32 v5, vcc, s13, v5
	v_lshl_or_b32 v1, v14, 16, v1
	v_addc_co_u32_e32 v6, vcc, v6, v11, vcc
	global_store_dword v[5:6], v1, off
	v_and_or_b32 v1, v10, s6, v9
	v_cmp_ne_u32_e32 vcc, 0, v1
	v_cndmask_b32_e64 v1, 0, 1, vcc
	v_lshrrev_b32_e32 v9, 8, v10
	v_bfe_u32 v11, v10, 20, 11
	v_and_or_b32 v1, v9, s7, v1
	v_sub_u32_e32 v12, 0x3f1, v11
	v_or_b32_e32 v9, 0x1000, v1
	v_med3_i32 v12, v12, 0, 13
	v_lshrrev_b32_e32 v14, v12, v9
	v_lshlrev_b32_e32 v12, v12, v14
	v_cmp_ne_u32_e32 vcc, v12, v9
	v_mul_f16_sdwa v7, v60, v7 dst_sel:DWORD dst_unused:UNUSED_PAD src0_sel:WORD_1 src1_sel:DWORD
	v_cndmask_b32_e64 v9, 0, 1, vcc
	v_fma_f16 v7, v60, v13, -v7
	v_or_b32_e32 v9, v14, v9
	v_add_u32_e32 v14, 0xfffffc10, v11
	v_cvt_f32_f16_e32 v7, v7
	v_lshl_or_b32 v11, v14, 12, v1
	v_cmp_gt_i32_e32 vcc, 1, v14
	v_cndmask_b32_e32 v9, v11, v9, vcc
	v_and_b32_e32 v11, 7, v9
	v_cmp_lt_i32_e32 vcc, 5, v11
	v_cmp_eq_u32_e64 s[0:1], 3, v11
	v_cvt_f64_f32_e32 v[11:12], v7
	v_lshrrev_b32_e32 v9, 2, v9
	s_or_b64 vcc, s[0:1], vcc
	v_addc_co_u32_e32 v7, vcc, 0, v9, vcc
	v_mul_f64 v[11:12], v[11:12], s[4:5]
	v_cmp_gt_i32_e32 vcc, 31, v14
	v_cndmask_b32_e32 v7, v2, v7, vcc
	v_cmp_ne_u32_e32 vcc, 0, v1
	v_cndmask_b32_e64 v1, 0, 1, vcc
	v_lshl_or_b32 v1, v1, 9, v2
	v_cmp_eq_u32_e32 vcc, s10, v14
	v_cndmask_b32_e32 v1, v7, v1, vcc
	v_lshrrev_b32_e32 v7, 16, v10
	v_and_or_b32 v7, v7, s11, v1
	v_and_or_b32 v1, v12, s6, v11
	v_cmp_ne_u32_e32 vcc, 0, v1
	v_cndmask_b32_e64 v1, 0, 1, vcc
	v_lshrrev_b32_e32 v9, 8, v12
	v_bfe_u32 v10, v12, 20, 11
	v_and_or_b32 v1, v9, s7, v1
	v_sub_u32_e32 v11, 0x3f1, v10
	v_or_b32_e32 v9, 0x1000, v1
	v_med3_i32 v11, v11, 0, 13
	v_lshrrev_b32_e32 v13, v11, v9
	v_lshlrev_b32_e32 v11, v11, v13
	v_cmp_ne_u32_e32 vcc, v11, v9
	v_cndmask_b32_e64 v9, 0, 1, vcc
	v_add_u32_e32 v11, 0xfffffc10, v10
	v_or_b32_e32 v9, v13, v9
	v_lshl_or_b32 v10, v11, 12, v1
	v_cmp_gt_i32_e32 vcc, 1, v11
	v_cndmask_b32_e32 v9, v10, v9, vcc
	v_and_b32_e32 v10, 7, v9
	v_cmp_lt_i32_e32 vcc, 5, v10
	v_cmp_eq_u32_e64 s[0:1], 3, v10
	v_lshrrev_b32_e32 v9, 2, v9
	s_or_b64 vcc, s[0:1], vcc
	v_addc_co_u32_e32 v9, vcc, 0, v9, vcc
	v_cmp_gt_i32_e32 vcc, 31, v11
	v_cndmask_b32_e32 v13, v2, v9, vcc
	v_mad_u64_u32 v[9:10], s[0:1], s8, v58, 0
	v_cmp_ne_u32_e32 vcc, 0, v1
	v_cndmask_b32_e64 v1, 0, 1, vcc
	v_lshl_or_b32 v1, v1, 9, v2
	v_cmp_eq_u32_e32 vcc, s10, v11
	v_lshrrev_b32_e32 v14, 16, v0
	v_cndmask_b32_e32 v13, v13, v1, vcc
	v_mov_b32_e32 v1, v10
	v_mul_f16_sdwa v10, v56, v14 dst_sel:DWORD dst_unused:UNUSED_PAD src0_sel:WORD_1 src1_sel:DWORD
	v_fma_f16 v10, v56, v0, v10
	v_cvt_f32_f16_e32 v15, v10
	v_lshrrev_b32_e32 v12, 16, v12
	v_mad_u64_u32 v[10:11], s[0:1], s9, v58, v[1:2]
	v_and_or_b32 v1, v12, s11, v13
	v_cvt_f64_f32_e32 v[11:12], v15
	v_lshlrev_b64 v[9:10], 2, v[9:10]
	v_and_b32_e32 v7, 0xffff, v7
	v_add_co_u32_e32 v9, vcc, v3, v9
	v_mul_f64 v[11:12], v[11:12], s[4:5]
	v_lshl_or_b32 v1, v1, 16, v7
	v_addc_co_u32_e32 v10, vcc, v4, v10, vcc
	global_store_dword v[9:10], v1, off
	v_mul_f16_sdwa v0, v56, v0 dst_sel:DWORD dst_unused:UNUSED_PAD src0_sel:WORD_1 src1_sel:DWORD
	v_fma_f16 v0, v56, v14, -v0
	v_cvt_f32_f16_e32 v0, v0
	v_and_or_b32 v1, v12, s6, v11
	v_cmp_ne_u32_e32 vcc, 0, v1
	v_cndmask_b32_e64 v1, 0, 1, vcc
	v_lshrrev_b32_e32 v7, 8, v12
	v_bfe_u32 v9, v12, 20, 11
	v_and_or_b32 v7, v7, s7, v1
	v_sub_u32_e32 v10, 0x3f1, v9
	v_or_b32_e32 v1, 0x1000, v7
	v_med3_i32 v10, v10, 0, 13
	v_lshrrev_b32_e32 v11, v10, v1
	v_lshlrev_b32_e32 v10, v10, v11
	v_cmp_ne_u32_e32 vcc, v10, v1
	v_cndmask_b32_e64 v1, 0, 1, vcc
	v_add_u32_e32 v9, 0xfffffc10, v9
	v_or_b32_e32 v1, v11, v1
	v_lshl_or_b32 v10, v9, 12, v7
	v_cmp_gt_i32_e32 vcc, 1, v9
	v_cndmask_b32_e32 v1, v10, v1, vcc
	v_and_b32_e32 v10, 7, v1
	v_cmp_lt_i32_e32 vcc, 5, v10
	v_cmp_eq_u32_e64 s[0:1], 3, v10
	v_lshrrev_b32_e32 v10, 2, v1
	v_cvt_f64_f32_e32 v[0:1], v0
	s_or_b64 vcc, s[0:1], vcc
	v_addc_co_u32_e32 v10, vcc, 0, v10, vcc
	v_mul_f64 v[0:1], v[0:1], s[4:5]
	v_cmp_gt_i32_e32 vcc, 31, v9
	v_cndmask_b32_e32 v10, v2, v10, vcc
	v_cmp_ne_u32_e32 vcc, 0, v7
	v_cndmask_b32_e64 v7, 0, 1, vcc
	v_lshl_or_b32 v7, v7, 9, v2
	v_cmp_eq_u32_e32 vcc, s10, v9
	v_cndmask_b32_e32 v7, v10, v7, vcc
	v_and_or_b32 v0, v1, s6, v0
	v_lshrrev_b32_e32 v9, 16, v12
	v_cmp_ne_u32_e32 vcc, 0, v0
	v_and_or_b32 v7, v9, s11, v7
	v_cndmask_b32_e64 v0, 0, 1, vcc
	v_lshrrev_b32_e32 v9, 8, v1
	v_bfe_u32 v10, v1, 20, 11
	v_and_or_b32 v0, v9, s7, v0
	v_sub_u32_e32 v11, 0x3f1, v10
	v_or_b32_e32 v9, 0x1000, v0
	v_med3_i32 v11, v11, 0, 13
	v_lshrrev_b32_e32 v12, v11, v9
	v_lshlrev_b32_e32 v11, v11, v12
	v_cmp_ne_u32_e32 vcc, v11, v9
	v_cndmask_b32_e64 v9, 0, 1, vcc
	v_add_u32_e32 v11, 0xfffffc10, v10
	v_or_b32_e32 v9, v12, v9
	v_lshl_or_b32 v10, v11, 12, v0
	v_cmp_gt_i32_e32 vcc, 1, v11
	v_cndmask_b32_e32 v9, v10, v9, vcc
	v_and_b32_e32 v10, 7, v9
	v_cmp_lt_i32_e32 vcc, 5, v10
	v_cmp_eq_u32_e64 s[0:1], 3, v10
	v_lshrrev_b32_e32 v9, 2, v9
	s_or_b64 vcc, s[0:1], vcc
	v_addc_co_u32_e32 v9, vcc, 0, v9, vcc
	v_cmp_gt_i32_e32 vcc, 31, v11
	v_cndmask_b32_e32 v12, v2, v9, vcc
	v_cmp_ne_u32_e32 vcc, 0, v0
	v_cndmask_b32_e64 v0, 0, 1, vcc
	v_mad_u64_u32 v[9:10], s[0:1], s8, v57, 0
	v_lshl_or_b32 v0, v0, 9, v2
	v_cmp_eq_u32_e32 vcc, s10, v11
	v_lshrrev_b32_e32 v13, 16, v8
	v_cndmask_b32_e32 v11, v12, v0, vcc
	v_lshrrev_b32_e32 v12, 16, v1
	v_mul_f16_sdwa v1, v55, v13 dst_sel:DWORD dst_unused:UNUSED_PAD src0_sel:WORD_1 src1_sel:DWORD
	v_fma_f16 v1, v55, v8, v1
	v_mov_b32_e32 v0, v10
	v_cvt_f32_f16_e32 v10, v1
	v_mad_u64_u32 v[0:1], s[0:1], s9, v57, v[0:1]
	v_and_or_b32 v14, v12, s11, v11
	v_cvt_f64_f32_e32 v[11:12], v10
	v_mov_b32_e32 v10, v0
	v_lshlrev_b64 v[9:10], 2, v[9:10]
	v_and_b32_e32 v7, 0xffff, v7
	v_mul_f64 v[0:1], v[11:12], s[4:5]
	v_add_co_u32_e32 v3, vcc, v3, v9
	v_addc_co_u32_e32 v4, vcc, v4, v10, vcc
	v_lshl_or_b32 v7, v14, 16, v7
	global_store_dword v[3:4], v7, off
	v_mul_f16_sdwa v8, v55, v8 dst_sel:DWORD dst_unused:UNUSED_PAD src0_sel:WORD_1 src1_sel:DWORD
	v_and_or_b32 v0, v1, s6, v0
	v_cmp_ne_u32_e32 vcc, 0, v0
	v_cndmask_b32_e64 v0, 0, 1, vcc
	v_lshrrev_b32_e32 v3, 8, v1
	v_bfe_u32 v4, v1, 20, 11
	v_and_or_b32 v0, v3, s7, v0
	v_sub_u32_e32 v7, 0x3f1, v4
	v_or_b32_e32 v3, 0x1000, v0
	v_med3_i32 v7, v7, 0, 13
	v_lshrrev_b32_e32 v9, v7, v3
	v_lshlrev_b32_e32 v7, v7, v9
	v_cmp_ne_u32_e32 vcc, v7, v3
	v_fma_f16 v8, v55, v13, -v8
	v_cndmask_b32_e64 v3, 0, 1, vcc
	v_add_u32_e32 v7, 0xfffffc10, v4
	v_cvt_f32_f16_e32 v8, v8
	v_or_b32_e32 v3, v9, v3
	v_lshl_or_b32 v4, v7, 12, v0
	v_cmp_gt_i32_e32 vcc, 1, v7
	v_cndmask_b32_e32 v3, v4, v3, vcc
	v_and_b32_e32 v4, 7, v3
	v_cmp_lt_i32_e32 vcc, 5, v4
	v_cmp_eq_u32_e64 s[0:1], 3, v4
	v_lshrrev_b32_e32 v9, 2, v3
	v_cvt_f64_f32_e32 v[3:4], v8
	s_or_b64 vcc, s[0:1], vcc
	v_addc_co_u32_e32 v8, vcc, 0, v9, vcc
	v_mul_f64 v[3:4], v[3:4], s[4:5]
	v_cmp_gt_i32_e32 vcc, 31, v7
	v_cndmask_b32_e32 v8, v2, v8, vcc
	v_cmp_ne_u32_e32 vcc, 0, v0
	v_cndmask_b32_e64 v0, 0, 1, vcc
	v_lshl_or_b32 v0, v0, 9, v2
	v_cmp_eq_u32_e32 vcc, s10, v7
	v_cndmask_b32_e32 v0, v8, v0, vcc
	v_lshrrev_b32_e32 v1, 16, v1
	v_and_or_b32 v7, v1, s11, v0
	v_and_or_b32 v0, v4, s6, v3
	v_cmp_ne_u32_e32 vcc, 0, v0
	v_cndmask_b32_e64 v0, 0, 1, vcc
	v_lshrrev_b32_e32 v1, 8, v4
	v_bfe_u32 v3, v4, 20, 11
	v_and_or_b32 v0, v1, s7, v0
	v_sub_u32_e32 v8, 0x3f1, v3
	v_or_b32_e32 v1, 0x1000, v0
	v_med3_i32 v8, v8, 0, 13
	v_lshrrev_b32_e32 v9, v8, v1
	v_lshlrev_b32_e32 v8, v8, v9
	v_cmp_ne_u32_e32 vcc, v8, v1
	v_cndmask_b32_e64 v1, 0, 1, vcc
	v_add_u32_e32 v3, 0xfffffc10, v3
	v_or_b32_e32 v1, v9, v1
	v_lshl_or_b32 v8, v3, 12, v0
	v_cmp_gt_i32_e32 vcc, 1, v3
	v_cndmask_b32_e32 v1, v8, v1, vcc
	v_and_b32_e32 v8, 7, v1
	v_cmp_lt_i32_e32 vcc, 5, v8
	v_cmp_eq_u32_e64 s[0:1], 3, v8
	v_lshrrev_b32_e32 v1, 2, v1
	s_or_b64 vcc, s[0:1], vcc
	v_addc_co_u32_e32 v1, vcc, 0, v1, vcc
	v_cmp_gt_i32_e32 vcc, 31, v3
	v_cndmask_b32_e32 v1, v2, v1, vcc
	v_cmp_ne_u32_e32 vcc, 0, v0
	v_cndmask_b32_e64 v0, 0, 1, vcc
	v_lshl_or_b32 v0, v0, 9, v2
	v_cmp_eq_u32_e32 vcc, s10, v3
	v_cndmask_b32_e32 v0, v1, v0, vcc
	v_lshrrev_b32_e32 v1, 16, v4
	v_and_or_b32 v2, v1, s11, v0
	v_mov_b32_e32 v0, 0x8c0
	v_mad_u64_u32 v[0:1], s[0:1], s8, v0, v[5:6]
	v_and_b32_e32 v3, 0xffff, v7
	s_mul_i32 s0, s9, 0x8c0
	v_lshl_or_b32 v2, v2, 16, v3
	v_add_u32_e32 v1, s0, v1
	global_store_dword v[0:1], v2, off
.LBB0_10:
	s_endpgm
	.section	.rodata,"a",@progbits
	.p2align	6, 0x0
	.amdhsa_kernel bluestein_single_back_len1008_dim1_half_op_CI_CI
		.amdhsa_group_segment_fixed_size 4032
		.amdhsa_private_segment_fixed_size 0
		.amdhsa_kernarg_size 104
		.amdhsa_user_sgpr_count 6
		.amdhsa_user_sgpr_private_segment_buffer 1
		.amdhsa_user_sgpr_dispatch_ptr 0
		.amdhsa_user_sgpr_queue_ptr 0
		.amdhsa_user_sgpr_kernarg_segment_ptr 1
		.amdhsa_user_sgpr_dispatch_id 0
		.amdhsa_user_sgpr_flat_scratch_init 0
		.amdhsa_user_sgpr_private_segment_size 0
		.amdhsa_uses_dynamic_stack 0
		.amdhsa_system_sgpr_private_segment_wavefront_offset 0
		.amdhsa_system_sgpr_workgroup_id_x 1
		.amdhsa_system_sgpr_workgroup_id_y 0
		.amdhsa_system_sgpr_workgroup_id_z 0
		.amdhsa_system_sgpr_workgroup_info 0
		.amdhsa_system_vgpr_workitem_id 0
		.amdhsa_next_free_vgpr 186
		.amdhsa_next_free_sgpr 20
		.amdhsa_reserve_vcc 1
		.amdhsa_reserve_flat_scratch 0
		.amdhsa_float_round_mode_32 0
		.amdhsa_float_round_mode_16_64 0
		.amdhsa_float_denorm_mode_32 3
		.amdhsa_float_denorm_mode_16_64 3
		.amdhsa_dx10_clamp 1
		.amdhsa_ieee_mode 1
		.amdhsa_fp16_overflow 0
		.amdhsa_exception_fp_ieee_invalid_op 0
		.amdhsa_exception_fp_denorm_src 0
		.amdhsa_exception_fp_ieee_div_zero 0
		.amdhsa_exception_fp_ieee_overflow 0
		.amdhsa_exception_fp_ieee_underflow 0
		.amdhsa_exception_fp_ieee_inexact 0
		.amdhsa_exception_int_div_zero 0
	.end_amdhsa_kernel
	.text
.Lfunc_end0:
	.size	bluestein_single_back_len1008_dim1_half_op_CI_CI, .Lfunc_end0-bluestein_single_back_len1008_dim1_half_op_CI_CI
                                        ; -- End function
	.section	.AMDGPU.csdata,"",@progbits
; Kernel info:
; codeLenInByte = 29472
; NumSgprs: 24
; NumVgprs: 186
; ScratchSize: 0
; MemoryBound: 0
; FloatMode: 240
; IeeeMode: 1
; LDSByteSize: 4032 bytes/workgroup (compile time only)
; SGPRBlocks: 2
; VGPRBlocks: 46
; NumSGPRsForWavesPerEU: 24
; NumVGPRsForWavesPerEU: 186
; Occupancy: 1
; WaveLimiterHint : 1
; COMPUTE_PGM_RSRC2:SCRATCH_EN: 0
; COMPUTE_PGM_RSRC2:USER_SGPR: 6
; COMPUTE_PGM_RSRC2:TRAP_HANDLER: 0
; COMPUTE_PGM_RSRC2:TGID_X_EN: 1
; COMPUTE_PGM_RSRC2:TGID_Y_EN: 0
; COMPUTE_PGM_RSRC2:TGID_Z_EN: 0
; COMPUTE_PGM_RSRC2:TIDIG_COMP_CNT: 0
	.type	__hip_cuid_e5a56e44a88424ed,@object ; @__hip_cuid_e5a56e44a88424ed
	.section	.bss,"aw",@nobits
	.globl	__hip_cuid_e5a56e44a88424ed
__hip_cuid_e5a56e44a88424ed:
	.byte	0                               ; 0x0
	.size	__hip_cuid_e5a56e44a88424ed, 1

	.ident	"AMD clang version 19.0.0git (https://github.com/RadeonOpenCompute/llvm-project roc-6.4.0 25133 c7fe45cf4b819c5991fe208aaa96edf142730f1d)"
	.section	".note.GNU-stack","",@progbits
	.addrsig
	.addrsig_sym __hip_cuid_e5a56e44a88424ed
	.amdgpu_metadata
---
amdhsa.kernels:
  - .args:
      - .actual_access:  read_only
        .address_space:  global
        .offset:         0
        .size:           8
        .value_kind:     global_buffer
      - .actual_access:  read_only
        .address_space:  global
        .offset:         8
        .size:           8
        .value_kind:     global_buffer
      - .actual_access:  read_only
        .address_space:  global
        .offset:         16
        .size:           8
        .value_kind:     global_buffer
      - .actual_access:  read_only
        .address_space:  global
        .offset:         24
        .size:           8
        .value_kind:     global_buffer
      - .actual_access:  read_only
        .address_space:  global
        .offset:         32
        .size:           8
        .value_kind:     global_buffer
      - .offset:         40
        .size:           8
        .value_kind:     by_value
      - .address_space:  global
        .offset:         48
        .size:           8
        .value_kind:     global_buffer
      - .address_space:  global
        .offset:         56
        .size:           8
        .value_kind:     global_buffer
      - .address_space:  global
        .offset:         64
        .size:           8
        .value_kind:     global_buffer
      - .address_space:  global
        .offset:         72
        .size:           8
        .value_kind:     global_buffer
      - .offset:         80
        .size:           4
        .value_kind:     by_value
      - .address_space:  global
        .offset:         88
        .size:           8
        .value_kind:     global_buffer
      - .address_space:  global
        .offset:         96
        .size:           8
        .value_kind:     global_buffer
    .group_segment_fixed_size: 4032
    .kernarg_segment_align: 8
    .kernarg_segment_size: 104
    .language:       OpenCL C
    .language_version:
      - 2
      - 0
    .max_flat_workgroup_size: 56
    .name:           bluestein_single_back_len1008_dim1_half_op_CI_CI
    .private_segment_fixed_size: 0
    .sgpr_count:     24
    .sgpr_spill_count: 0
    .symbol:         bluestein_single_back_len1008_dim1_half_op_CI_CI.kd
    .uniform_work_group_size: 1
    .uses_dynamic_stack: false
    .vgpr_count:     186
    .vgpr_spill_count: 0
    .wavefront_size: 64
amdhsa.target:   amdgcn-amd-amdhsa--gfx906
amdhsa.version:
  - 1
  - 2
...

	.end_amdgpu_metadata
